;; amdgpu-corpus repo=zjin-lcf/HeCBench kind=compiled arch=gfx90a opt=O3
	.text
	.amdgcn_target "amdgcn-amd-amdhsa--gfx90a"
	.amdhsa_code_object_version 6
	.section	.text._ZL4initiiPiS_S_P8EdgeInfoS_S_,"axG",@progbits,_ZL4initiiPiS_S_P8EdgeInfoS_S_,comdat
	.globl	_ZL4initiiPiS_S_P8EdgeInfoS_S_  ; -- Begin function _ZL4initiiPiS_S_P8EdgeInfoS_S_
	.p2align	8
	.type	_ZL4initiiPiS_S_P8EdgeInfoS_S_,@function
_ZL4initiiPiS_S_P8EdgeInfoS_S_:         ; @_ZL4initiiPiS_S_P8EdgeInfoS_S_
; %bb.0:
	s_load_dword s22, s[4:5], 0x38
	s_load_dwordx2 s[20:21], s[4:5], 0x0
	s_load_dwordx4 s[16:19], s[4:5], 0x28
	s_load_dwordx8 s[8:15], s[4:5], 0x8
	v_lshl_add_u32 v0, s6, 8, v0
	s_waitcnt lgkmcnt(0)
	s_lshl_b32 s4, s22, 8
	v_cmp_gt_i32_e32 vcc, s20, v0
	v_ashrrev_i32_e32 v1, 31, v0
	s_and_saveexec_b64 s[2:3], vcc
	s_cbranch_execz .LBB0_3
; %bb.1:
	v_lshlrev_b64 v[2:3], 2, v[0:1]
	s_ashr_i32 s5, s4, 31
	v_mov_b32_e32 v4, s9
	v_add_co_u32_e64 v2, s[0:1], s8, v2
	s_lshl_b64 s[6:7], s[4:5], 2
	v_addc_co_u32_e64 v3, s[0:1], v4, v3, s[0:1]
	s_mov_b64 s[8:9], 0
	v_mov_b32_e32 v4, s7
	v_mov_b32_e32 v5, v0
.LBB0_2:                                ; =>This Inner Loop Header: Depth=1
	global_load_dword v6, v[2:3], off
	v_add_u32_e32 v5, s4, v5
	v_cmp_le_i32_e64 s[0:1], s20, v5
	s_or_b64 s[8:9], s[0:1], s[8:9]
	s_waitcnt vmcnt(0)
	v_lshlrev_b32_e32 v6, 1, v6
	global_store_dword v[2:3], v6, off
	v_add_co_u32_e64 v2, s[0:1], s6, v2
	v_addc_co_u32_e64 v3, s[0:1], v3, v4, s[0:1]
	s_andn2_b64 exec, exec, s[8:9]
	s_cbranch_execnz .LBB0_2
.LBB0_3:
	s_or_b64 exec, exec, s[2:3]
	v_cmp_gt_i32_e64 s[0:1], s21, v0
	s_and_saveexec_b64 s[6:7], s[0:1]
	s_cbranch_execz .LBB0_11
; %bb.4:
	v_cvt_f32_u32_e32 v2, s4
	v_add_u32_e32 v3, s4, v0
	v_mov_b32_e32 v4, s4
	v_cmp_gt_i32_e64 s[0:1], s21, v3
	v_rcp_iflag_f32_e32 v2, v2
	s_sub_i32 s5, 0, s4
	v_max_i32_e32 v5, s21, v3
	v_addc_co_u32_e64 v4, s[2:3], v0, v4, s[0:1]
	v_mul_f32_e32 v2, 0x4f7ffffe, v2
	v_cvt_u32_f32_e32 v2, v2
	v_sub_u32_e32 v4, v5, v4
	v_mul_lo_u32 v5, s5, v2
	v_mul_hi_u32 v5, v2, v5
	v_add_u32_e32 v2, v2, v5
	v_mul_hi_u32 v2, v4, v2
	v_mul_lo_u32 v5, v2, s4
	v_sub_u32_e32 v4, v4, v5
	v_add_u32_e32 v6, 1, v2
	v_cmp_le_u32_e64 s[2:3], s4, v4
	v_subrev_u32_e32 v5, s4, v4
	v_cndmask_b32_e64 v2, v2, v6, s[2:3]
	v_cndmask_b32_e64 v4, v4, v5, s[2:3]
	v_add_u32_e32 v5, 1, v2
	v_cmp_le_u32_e64 s[2:3], s4, v4
	v_cndmask_b32_e64 v2, v2, v5, s[2:3]
	v_addc_co_u32_e64 v4, s[0:1], 1, v2, s[0:1]
	v_cmp_lt_u32_e64 s[0:1], 1, v4
	s_mov_b64 s[2:3], -1
	v_mov_b32_e32 v2, v0
	s_and_saveexec_b64 s[8:9], s[0:1]
	s_cbranch_execz .LBB0_8
; %bb.5:
	v_and_b32_e32 v5, -2, v4
	s_lshl_b32 s5, s22, 9
	v_mov_b32_e32 v2, v0
	s_mov_b32 s24, s5
	s_mov_b64 s[22:23], 0
	v_mov_b32_e32 v6, s13
	v_mov_b32_e32 v7, 0
	;; [unrolled: 1-line block ×3, first 2 shown]
.LBB0_6:                                ; =>This Inner Loop Header: Depth=1
	v_ashrrev_i32_e32 v13, 31, v2
	v_mov_b32_e32 v12, v2
	v_lshlrev_b64 v[12:13], 2, v[12:13]
	v_ashrrev_i32_e32 v11, 31, v3
	v_mov_b32_e32 v10, v3
	v_add_u32_e32 v8, -2, v8
	v_add_co_u32_e64 v12, s[2:3], s12, v12
	v_lshlrev_b64 v[10:11], 2, v[10:11]
	v_cmp_eq_u32_e64 s[0:1], 0, v8
	v_addc_co_u32_e64 v13, s[2:3], v6, v13, s[2:3]
	v_add_u32_e32 v3, s24, v3
	v_add_u32_e32 v2, s5, v2
	v_add_co_u32_e64 v10, s[2:3], s12, v10
	s_or_b64 s[22:23], s[0:1], s[22:23]
	v_addc_co_u32_e64 v11, s[2:3], v6, v11, s[2:3]
	global_store_dword v[12:13], v7, off
	global_store_dword v[10:11], v7, off
	s_andn2_b64 exec, exec, s[22:23]
	s_cbranch_execnz .LBB0_6
; %bb.7:
	s_or_b64 exec, exec, s[22:23]
	v_mad_u64_u32 v[2:3], s[0:1], v5, s4, v[0:1]
	v_cmp_ne_u32_e64 s[0:1], v4, v5
	s_orn2_b64 s[2:3], s[0:1], exec
.LBB0_8:
	s_or_b64 exec, exec, s[8:9]
	s_and_b64 exec, exec, s[2:3]
	s_cbranch_execz .LBB0_11
; %bb.9:
	v_ashrrev_i32_e32 v3, 31, v2
	v_lshlrev_b64 v[4:5], 2, v[2:3]
	s_ashr_i32 s5, s4, 31
	v_mov_b32_e32 v3, s13
	v_add_co_u32_e64 v4, s[0:1], s12, v4
	s_lshl_b64 s[8:9], s[4:5], 2
	v_addc_co_u32_e64 v5, s[0:1], v3, v5, s[0:1]
	s_mov_b64 s[12:13], 0
	v_mov_b32_e32 v3, 0
	v_mov_b32_e32 v6, s9
.LBB0_10:                               ; =>This Inner Loop Header: Depth=1
	v_add_u32_e32 v2, s4, v2
	global_store_dword v[4:5], v3, off
	v_add_co_u32_e64 v4, s[0:1], s8, v4
	v_cmp_le_i32_e64 s[2:3], s21, v2
	s_or_b64 s[12:13], s[2:3], s[12:13]
	v_addc_co_u32_e64 v5, s[0:1], v5, v6, s[0:1]
	s_andn2_b64 exec, exec, s[12:13]
	s_cbranch_execnz .LBB0_10
.LBB0_11:
	s_or_b64 exec, exec, s[6:7]
	s_and_saveexec_b64 s[0:1], vcc
	s_cbranch_execz .LBB0_16
; %bb.12:
	v_lshlrev_b64 v[2:3], 2, v[0:1]
	v_mov_b32_e32 v5, s11
	v_add_co_u32_e32 v4, vcc, s10, v2
	v_addc_co_u32_e32 v5, vcc, v5, v3, vcc
	v_lshlrev_b64 v[6:7], 3, v[0:1]
	v_mov_b32_e32 v1, s15
	v_add_co_u32_e32 v6, vcc, s14, v6
	s_ashr_i32 s5, s4, 31
	v_addc_co_u32_e32 v1, vcc, v7, v1, vcc
	s_lshl_b64 s[0:1], s[4:5], 2
	v_add_co_u32_e32 v6, vcc, 4, v6
	s_lshl_b64 s[6:7], s[4:5], 3
	v_addc_co_u32_e32 v7, vcc, 0, v1, vcc
	s_mov_b64 s[2:3], 0
	v_mov_b32_e32 v1, s1
	v_mov_b32_e32 v8, s7
	;; [unrolled: 1-line block ×3, first 2 shown]
.LBB0_13:                               ; =>This Inner Loop Header: Depth=1
	global_load_dword v10, v[4:5], off
	v_add_co_u32_e32 v4, vcc, s0, v4
	v_add_u32_e32 v9, s4, v9
	v_addc_co_u32_e32 v5, vcc, v5, v1, vcc
	v_cmp_le_i32_e32 vcc, s20, v9
	s_or_b64 s[2:3], vcc, s[2:3]
	s_waitcnt vmcnt(0)
	v_cmp_eq_u32_e32 vcc, -1, v10
	v_cndmask_b32_e64 v10, 0, 1, vcc
	global_store_dword v[6:7], v10, off
	v_add_co_u32_e32 v6, vcc, s6, v6
	v_addc_co_u32_e32 v7, vcc, v7, v8, vcc
	s_andn2_b64 exec, exec, s[2:3]
	s_cbranch_execnz .LBB0_13
; %bb.14:
	s_or_b64 exec, exec, s[2:3]
	s_mov_b64 s[2:3], 0
	v_mov_b32_e32 v1, s17
	v_mov_b32_e32 v4, 0
	;; [unrolled: 1-line block ×4, first 2 shown]
.LBB0_15:                               ; =>This Inner Loop Header: Depth=1
	v_add_co_u32_e32 v8, vcc, s16, v2
	v_addc_co_u32_e32 v9, vcc, v1, v3, vcc
	v_add_co_u32_e32 v10, vcc, s18, v2
	v_addc_co_u32_e32 v11, vcc, v5, v3, vcc
	v_add_co_u32_e32 v2, vcc, s0, v2
	v_add_u32_e32 v0, s4, v0
	v_addc_co_u32_e32 v3, vcc, v3, v6, vcc
	v_cmp_le_i32_e32 vcc, s20, v0
	s_or_b64 s[2:3], vcc, s[2:3]
	global_store_dword v[8:9], v4, off
	global_store_dword v[10:11], v4, off
	s_andn2_b64 exec, exec, s[2:3]
	s_cbranch_execnz .LBB0_15
.LBB0_16:
	s_endpgm
	.section	.rodata,"a",@progbits
	.p2align	6, 0x0
	.amdhsa_kernel _ZL4initiiPiS_S_P8EdgeInfoS_S_
		.amdhsa_group_segment_fixed_size 0
		.amdhsa_private_segment_fixed_size 0
		.amdhsa_kernarg_size 312
		.amdhsa_user_sgpr_count 6
		.amdhsa_user_sgpr_private_segment_buffer 1
		.amdhsa_user_sgpr_dispatch_ptr 0
		.amdhsa_user_sgpr_queue_ptr 0
		.amdhsa_user_sgpr_kernarg_segment_ptr 1
		.amdhsa_user_sgpr_dispatch_id 0
		.amdhsa_user_sgpr_flat_scratch_init 0
		.amdhsa_user_sgpr_kernarg_preload_length 0
		.amdhsa_user_sgpr_kernarg_preload_offset 0
		.amdhsa_user_sgpr_private_segment_size 0
		.amdhsa_uses_dynamic_stack 0
		.amdhsa_system_sgpr_private_segment_wavefront_offset 0
		.amdhsa_system_sgpr_workgroup_id_x 1
		.amdhsa_system_sgpr_workgroup_id_y 0
		.amdhsa_system_sgpr_workgroup_id_z 0
		.amdhsa_system_sgpr_workgroup_info 0
		.amdhsa_system_vgpr_workitem_id 0
		.amdhsa_next_free_vgpr 14
		.amdhsa_next_free_sgpr 25
		.amdhsa_accum_offset 16
		.amdhsa_reserve_vcc 1
		.amdhsa_reserve_flat_scratch 0
		.amdhsa_float_round_mode_32 0
		.amdhsa_float_round_mode_16_64 0
		.amdhsa_float_denorm_mode_32 3
		.amdhsa_float_denorm_mode_16_64 3
		.amdhsa_dx10_clamp 1
		.amdhsa_ieee_mode 1
		.amdhsa_fp16_overflow 0
		.amdhsa_tg_split 0
		.amdhsa_exception_fp_ieee_invalid_op 0
		.amdhsa_exception_fp_denorm_src 0
		.amdhsa_exception_fp_ieee_div_zero 0
		.amdhsa_exception_fp_ieee_overflow 0
		.amdhsa_exception_fp_ieee_underflow 0
		.amdhsa_exception_fp_ieee_inexact 0
		.amdhsa_exception_int_div_zero 0
	.end_amdhsa_kernel
	.section	.text._ZL4initiiPiS_S_P8EdgeInfoS_S_,"axG",@progbits,_ZL4initiiPiS_S_P8EdgeInfoS_S_,comdat
.Lfunc_end0:
	.size	_ZL4initiiPiS_S_P8EdgeInfoS_S_, .Lfunc_end0-_ZL4initiiPiS_S_P8EdgeInfoS_S_
                                        ; -- End function
	.section	.AMDGPU.csdata,"",@progbits
; Kernel info:
; codeLenInByte = 900
; NumSgprs: 29
; NumVgprs: 14
; NumAgprs: 0
; TotalNumVgprs: 14
; ScratchSize: 0
; MemoryBound: 0
; FloatMode: 240
; IeeeMode: 1
; LDSByteSize: 0 bytes/workgroup (compile time only)
; SGPRBlocks: 3
; VGPRBlocks: 1
; NumSGPRsForWavesPerEU: 29
; NumVGPRsForWavesPerEU: 14
; AccumOffset: 16
; Occupancy: 8
; WaveLimiterHint : 0
; COMPUTE_PGM_RSRC2:SCRATCH_EN: 0
; COMPUTE_PGM_RSRC2:USER_SGPR: 6
; COMPUTE_PGM_RSRC2:TRAP_HANDLER: 0
; COMPUTE_PGM_RSRC2:TGID_X_EN: 1
; COMPUTE_PGM_RSRC2:TGID_Y_EN: 0
; COMPUTE_PGM_RSRC2:TGID_Z_EN: 0
; COMPUTE_PGM_RSRC2:TIDIG_COMP_CNT: 0
; COMPUTE_PGM_RSRC3_GFX90A:ACCUM_OFFSET: 3
; COMPUTE_PGM_RSRC3_GFX90A:TG_SPLIT: 0
	.section	.text._ZL5init2iiiPiS_S_S_S_,"axG",@progbits,_ZL5init2iiiPiS_S_S_S_,comdat
	.globl	_ZL5init2iiiPiS_S_S_S_          ; -- Begin function _ZL5init2iiiPiS_S_S_S_
	.p2align	8
	.type	_ZL5init2iiiPiS_S_S_S_,@function
_ZL5init2iiiPiS_S_S_S_:                 ; @_ZL5init2iiiPiS_S_S_S_
; %bb.0:
	s_load_dwordx2 s[20:21], s[4:5], 0x30
	s_load_dword s24, s[4:5], 0x38
	s_load_dwordx4 s[16:19], s[4:5], 0x0
	s_load_dwordx8 s[8:15], s[4:5], 0x10
	v_lshl_add_u32 v0, s6, 8, v0
	s_waitcnt lgkmcnt(0)
	s_lshl_b32 s4, s24, 8
	v_cmp_gt_i32_e32 vcc, s16, v0
	s_and_saveexec_b64 s[0:1], vcc
	s_cbranch_execz .LBB1_3
; %bb.1:
	v_ashrrev_i32_e32 v1, 31, v0
	v_lshlrev_b64 v[2:3], 2, v[0:1]
	s_ashr_i32 s5, s4, 31
	v_mov_b32_e32 v1, s9
	v_add_co_u32_e32 v2, vcc, s8, v2
	s_lshl_b64 s[2:3], s[4:5], 2
	v_addc_co_u32_e32 v3, vcc, v1, v3, vcc
	s_mov_b64 s[6:7], 0
	v_mov_b32_e32 v1, s3
	v_mov_b32_e32 v4, v0
.LBB1_2:                                ; =>This Inner Loop Header: Depth=1
	global_load_dword v5, v[2:3], off
	v_add_u32_e32 v4, s4, v4
	v_cmp_le_i32_e32 vcc, s16, v4
	s_or_b64 s[6:7], vcc, s[6:7]
	s_waitcnt vmcnt(0)
	v_and_b32_e32 v5, -2, v5
	global_store_dword v[2:3], v5, off
	v_add_co_u32_e32 v2, vcc, s2, v2
	v_addc_co_u32_e32 v3, vcc, v3, v1, vcc
	s_andn2_b64 exec, exec, s[6:7]
	s_cbranch_execnz .LBB1_2
.LBB1_3:
	s_or_b64 exec, exec, s[0:1]
	v_cmp_gt_i32_e32 vcc, s17, v0
	s_and_saveexec_b64 s[6:7], vcc
	s_cbranch_execz .LBB1_18
; %bb.4:
	v_cvt_f32_u32_e32 v2, s4
	v_add_u32_e32 v1, s4, v0
	v_mov_b32_e32 v3, s4
	v_cmp_gt_i32_e32 vcc, s17, v1
	v_rcp_iflag_f32_e32 v2, v2
	s_sub_i32 s2, 0, s4
	v_max_i32_e32 v4, s17, v1
	v_addc_co_u32_e64 v3, s[0:1], v0, v3, vcc
	v_mul_f32_e32 v2, 0x4f7ffffe, v2
	v_cvt_u32_f32_e32 v2, v2
	v_sub_u32_e32 v3, v4, v3
	v_mul_lo_u32 v4, s2, v2
	v_mul_hi_u32 v4, v2, v4
	v_add_u32_e32 v2, v2, v4
	v_mul_hi_u32 v2, v3, v2
	v_mul_lo_u32 v4, v2, s4
	v_sub_u32_e32 v3, v3, v4
	v_add_u32_e32 v5, 1, v2
	v_cmp_le_u32_e64 s[0:1], s4, v3
	v_subrev_u32_e32 v4, s4, v3
	v_cndmask_b32_e64 v2, v2, v5, s[0:1]
	v_cndmask_b32_e64 v3, v3, v4, s[0:1]
	v_add_u32_e32 v4, 1, v2
	v_cmp_le_u32_e64 s[0:1], s4, v3
	v_cndmask_b32_e64 v2, v2, v4, s[0:1]
	v_addc_co_u32_e32 v6, vcc, 1, v2, vcc
	v_cmp_lt_u32_e32 vcc, 1, v6
	s_mov_b64 s[0:1], -1
	v_and_b32_e32 v7, -2, v6
	v_mov_b32_e32 v2, v0
	s_and_saveexec_b64 s[8:9], vcc
	s_cbranch_execz .LBB1_8
; %bb.5:
	v_and_b32_e32 v4, -2, v6
	s_lshl_b32 s5, s24, 9
	s_mov_b32 s16, s5
	s_mov_b32 s19, s18
	s_mov_b64 s[22:23], 0
	v_mov_b32_e32 v5, 0x7ffffffc
	v_mov_b32_e32 v8, s11
	;; [unrolled: 1-line block ×3, first 2 shown]
	v_pk_mov_b32 v[2:3], v[0:1], v[0:1] op_sel:[0,1]
.LBB1_6:                                ; =>This Inner Loop Header: Depth=1
	v_ashrrev_i32_e32 v13, 31, v2
	v_mov_b32_e32 v12, v2
	v_cmp_eq_u32_e64 s[0:1], s19, v3
	v_lshlrev_b64 v[12:13], 2, v[12:13]
	v_cndmask_b32_e64 v14, -1, v5, s[0:1]
	v_cmp_eq_u32_e64 s[0:1], s18, v2
	v_ashrrev_i32_e32 v11, 31, v3
	v_mov_b32_e32 v10, v3
	v_add_u32_e32 v9, -2, v9
	v_add_co_u32_e64 v12, s[2:3], s10, v12
	v_cndmask_b32_e64 v15, -1, v5, s[0:1]
	v_lshlrev_b64 v[10:11], 2, v[10:11]
	v_cmp_eq_u32_e64 s[0:1], 0, v9
	v_addc_co_u32_e64 v13, s[2:3], v8, v13, s[2:3]
	v_add_u32_e32 v3, s16, v3
	v_add_u32_e32 v2, s5, v2
	v_add_co_u32_e64 v10, s[2:3], s10, v10
	s_or_b64 s[22:23], s[0:1], s[22:23]
	v_addc_co_u32_e64 v11, s[2:3], v8, v11, s[2:3]
	global_store_dword v[12:13], v15, off
	global_store_dword v[10:11], v14, off
	s_andn2_b64 exec, exec, s[22:23]
	s_cbranch_execnz .LBB1_6
; %bb.7:
	s_or_b64 exec, exec, s[22:23]
	v_mad_u64_u32 v[2:3], s[0:1], v4, s4, v[0:1]
	v_cmp_ne_u32_e64 s[0:1], v6, v4
	s_orn2_b64 s[0:1], s[0:1], exec
.LBB1_8:
	s_or_b64 exec, exec, s[8:9]
	s_and_saveexec_b64 s[8:9], s[0:1]
	s_cbranch_execz .LBB1_11
; %bb.9:
	v_ashrrev_i32_e32 v3, 31, v2
	v_lshlrev_b64 v[4:5], 2, v[2:3]
	s_ashr_i32 s5, s4, 31
	v_mov_b32_e32 v3, s11
	v_add_co_u32_e64 v4, s[0:1], s10, v4
	s_lshl_b64 s[10:11], s[4:5], 2
	v_addc_co_u32_e64 v5, s[0:1], v3, v5, s[0:1]
	s_mov_b64 s[22:23], 0
	v_mov_b32_e32 v3, 0x7ffffffc
	v_mov_b32_e32 v8, s11
.LBB1_10:                               ; =>This Inner Loop Header: Depth=1
	v_cmp_eq_u32_e64 s[0:1], s18, v2
	v_cndmask_b32_e64 v9, -1, v3, s[0:1]
	v_add_u32_e32 v2, s4, v2
	global_store_dword v[4:5], v9, off
	v_cmp_le_i32_e64 s[0:1], s17, v2
	v_add_co_u32_e64 v4, s[2:3], s10, v4
	s_or_b64 s[22:23], s[0:1], s[22:23]
	v_addc_co_u32_e64 v5, s[0:1], v5, v8, s[2:3]
	s_andn2_b64 exec, exec, s[22:23]
	s_cbranch_execnz .LBB1_10
.LBB1_11:
	s_or_b64 exec, exec, s[8:9]
	s_mov_b64 s[0:1], -1
	v_mov_b32_e32 v2, v0
	s_and_saveexec_b64 s[2:3], vcc
	s_cbranch_execz .LBB1_15
; %bb.12:
	s_lshl_b32 s5, s24, 9
	s_mov_b32 s10, s5
	s_mov_b64 s[8:9], 0
	v_mov_b32_e32 v4, s15
	v_mov_b32_e32 v5, 1
	;; [unrolled: 1-line block ×3, first 2 shown]
	v_pk_mov_b32 v[2:3], v[0:1], v[0:1] op_sel:[0,1]
.LBB1_13:                               ; =>This Inner Loop Header: Depth=1
	v_ashrrev_i32_e32 v13, 31, v2
	v_mov_b32_e32 v12, v2
	v_lshlrev_b64 v[12:13], 2, v[12:13]
	v_ashrrev_i32_e32 v11, 31, v3
	v_mov_b32_e32 v10, v3
	v_add_u32_e32 v8, -2, v8
	v_add_co_u32_e64 v12, s[0:1], s14, v12
	v_lshlrev_b64 v[10:11], 2, v[10:11]
	v_cmp_eq_u32_e32 vcc, 0, v8
	v_addc_co_u32_e64 v13, s[0:1], v4, v13, s[0:1]
	v_add_u32_e32 v3, s10, v3
	v_add_u32_e32 v2, s5, v2
	v_add_co_u32_e64 v10, s[0:1], s14, v10
	s_or_b64 s[8:9], vcc, s[8:9]
	v_addc_co_u32_e64 v11, s[0:1], v4, v11, s[0:1]
	global_store_dword v[12:13], v5, off
	global_store_dword v[10:11], v5, off
	s_andn2_b64 exec, exec, s[8:9]
	s_cbranch_execnz .LBB1_13
; %bb.14:
	s_or_b64 exec, exec, s[8:9]
	v_mad_u64_u32 v[2:3], s[0:1], v7, s4, v[0:1]
	v_cmp_ne_u32_e32 vcc, v6, v7
	s_orn2_b64 s[0:1], vcc, exec
.LBB1_15:
	s_or_b64 exec, exec, s[2:3]
	s_and_b64 exec, exec, s[0:1]
	s_cbranch_execz .LBB1_18
; %bb.16:
	v_ashrrev_i32_e32 v3, 31, v2
	v_lshlrev_b64 v[4:5], 2, v[2:3]
	s_ashr_i32 s5, s4, 31
	v_mov_b32_e32 v1, s15
	v_add_co_u32_e32 v4, vcc, s14, v4
	s_lshl_b64 s[2:3], s[4:5], 2
	v_addc_co_u32_e32 v5, vcc, v1, v5, vcc
	s_mov_b64 s[8:9], 0
	v_mov_b32_e32 v1, 1
	v_mov_b32_e32 v3, s3
.LBB1_17:                               ; =>This Inner Loop Header: Depth=1
	v_add_u32_e32 v2, s4, v2
	global_store_dword v[4:5], v1, off
	v_add_co_u32_e32 v4, vcc, s2, v4
	v_cmp_le_i32_e64 s[0:1], s17, v2
	s_or_b64 s[8:9], s[0:1], s[8:9]
	v_addc_co_u32_e32 v5, vcc, v5, v3, vcc
	s_andn2_b64 exec, exec, s[8:9]
	s_cbranch_execnz .LBB1_17
.LBB1_18:
	s_or_b64 exec, exec, s[6:7]
	v_cmp_eq_u32_e32 vcc, 0, v0
	s_and_saveexec_b64 s[0:1], vcc
	s_cbranch_execz .LBB1_20
; %bb.19:
	v_mov_b32_e32 v0, 0
	v_mov_b32_e32 v1, s18
	global_store_dword v0, v1, s[12:13]
	v_mov_b32_e32 v1, 1
	global_store_dword v0, v1, s[20:21]
.LBB1_20:
	s_endpgm
	.section	.rodata,"a",@progbits
	.p2align	6, 0x0
	.amdhsa_kernel _ZL5init2iiiPiS_S_S_S_
		.amdhsa_group_segment_fixed_size 0
		.amdhsa_private_segment_fixed_size 0
		.amdhsa_kernarg_size 312
		.amdhsa_user_sgpr_count 6
		.amdhsa_user_sgpr_private_segment_buffer 1
		.amdhsa_user_sgpr_dispatch_ptr 0
		.amdhsa_user_sgpr_queue_ptr 0
		.amdhsa_user_sgpr_kernarg_segment_ptr 1
		.amdhsa_user_sgpr_dispatch_id 0
		.amdhsa_user_sgpr_flat_scratch_init 0
		.amdhsa_user_sgpr_kernarg_preload_length 0
		.amdhsa_user_sgpr_kernarg_preload_offset 0
		.amdhsa_user_sgpr_private_segment_size 0
		.amdhsa_uses_dynamic_stack 0
		.amdhsa_system_sgpr_private_segment_wavefront_offset 0
		.amdhsa_system_sgpr_workgroup_id_x 1
		.amdhsa_system_sgpr_workgroup_id_y 0
		.amdhsa_system_sgpr_workgroup_id_z 0
		.amdhsa_system_sgpr_workgroup_info 0
		.amdhsa_system_vgpr_workitem_id 0
		.amdhsa_next_free_vgpr 16
		.amdhsa_next_free_sgpr 25
		.amdhsa_accum_offset 16
		.amdhsa_reserve_vcc 1
		.amdhsa_reserve_flat_scratch 0
		.amdhsa_float_round_mode_32 0
		.amdhsa_float_round_mode_16_64 0
		.amdhsa_float_denorm_mode_32 3
		.amdhsa_float_denorm_mode_16_64 3
		.amdhsa_dx10_clamp 1
		.amdhsa_ieee_mode 1
		.amdhsa_fp16_overflow 0
		.amdhsa_tg_split 0
		.amdhsa_exception_fp_ieee_invalid_op 0
		.amdhsa_exception_fp_denorm_src 0
		.amdhsa_exception_fp_ieee_div_zero 0
		.amdhsa_exception_fp_ieee_overflow 0
		.amdhsa_exception_fp_ieee_underflow 0
		.amdhsa_exception_fp_ieee_inexact 0
		.amdhsa_exception_int_div_zero 0
	.end_amdhsa_kernel
	.section	.text._ZL5init2iiiPiS_S_S_S_,"axG",@progbits,_ZL5init2iiiPiS_S_S_S_,comdat
.Lfunc_end1:
	.size	_ZL5init2iiiPiS_S_S_S_, .Lfunc_end1-_ZL5init2iiiPiS_S_S_S_
                                        ; -- End function
	.section	.AMDGPU.csdata,"",@progbits
; Kernel info:
; codeLenInByte = 1012
; NumSgprs: 29
; NumVgprs: 16
; NumAgprs: 0
; TotalNumVgprs: 16
; ScratchSize: 0
; MemoryBound: 0
; FloatMode: 240
; IeeeMode: 1
; LDSByteSize: 0 bytes/workgroup (compile time only)
; SGPRBlocks: 3
; VGPRBlocks: 1
; NumSGPRsForWavesPerEU: 29
; NumVGPRsForWavesPerEU: 16
; AccumOffset: 16
; Occupancy: 8
; WaveLimiterHint : 0
; COMPUTE_PGM_RSRC2:SCRATCH_EN: 0
; COMPUTE_PGM_RSRC2:USER_SGPR: 6
; COMPUTE_PGM_RSRC2:TRAP_HANDLER: 0
; COMPUTE_PGM_RSRC2:TGID_X_EN: 1
; COMPUTE_PGM_RSRC2:TGID_Y_EN: 0
; COMPUTE_PGM_RSRC2:TGID_Z_EN: 0
; COMPUTE_PGM_RSRC2:TIDIG_COMP_CNT: 0
; COMPUTE_PGM_RSRC3_GFX90A:ACCUM_OFFSET: 3
; COMPUTE_PGM_RSRC3_GFX90A:TG_SPLIT: 0
	.section	.text._ZL20generateSpanningTreeiPKiS0_iP8EdgeInfoPiS3_iS3_ii,"axG",@progbits,_ZL20generateSpanningTreeiPKiS0_iP8EdgeInfoPiS3_iS3_ii,comdat
	.globl	_ZL20generateSpanningTreeiPKiS0_iP8EdgeInfoPiS3_iS3_ii ; -- Begin function _ZL20generateSpanningTreeiPKiS0_iP8EdgeInfoPiS3_iS3_ii
	.p2align	8
	.type	_ZL20generateSpanningTreeiPKiS0_iP8EdgeInfoPiS3_iS3_ii,@function
_ZL20generateSpanningTreeiPKiS0_iP8EdgeInfoPiS3_iS3_ii: ; @_ZL20generateSpanningTreeiPKiS0_iP8EdgeInfoPiS3_iS3_ii
; %bb.0:
	s_load_dwordx2 s[16:17], s[4:5], 0x48
	v_lshl_add_u32 v1, s6, 8, v0
	v_lshrrev_b32_e32 v1, 6, v1
	s_waitcnt lgkmcnt(0)
	v_add_u32_e32 v2, s16, v1
	v_cmp_gt_i32_e32 vcc, s17, v2
	s_and_saveexec_b64 s[0:1], vcc
	s_cbranch_execz .LBB2_22
; %bb.1:
	s_load_dwordx2 s[6:7], s[4:5], 0x40
	s_load_dword s0, s[4:5], 0x50
	s_load_dwordx4 s[8:11], s[4:5], 0x8
	s_load_dword s1, s[4:5], 0x18
	s_load_dwordx4 s[12:15], s[4:5], 0x28
	s_load_dword s2, s[4:5], 0x38
	s_waitcnt lgkmcnt(0)
	s_lshl_b32 s0, s0, 2
	s_and_b32 s16, s0, 0x3fffffc
	s_add_i32 s33, s1, 1
	v_and_b32_e32 v0, 63, v0
	s_and_b32 s0, s2, 1
	s_mul_i32 s33, s33, s1
	s_or_b32 s42, s0, 2
	v_cmp_eq_u32_e32 vcc, 0, v0
	v_not_b32_e32 v12, v0
	s_mov_b64 s[4:5], 0
	v_mov_b32_e32 v13, s15
	v_mov_b32_e32 v14, -4
	v_mov_b32_e32 v15, s9
	s_mov_b32 s9, 0x45d9f3b
	v_mov_b32_e32 v16, 0
	s_branch .LBB2_3
.LBB2_2:                                ;   in Loop: Header=BB2_3 Depth=1
	s_or_b64 exec, exec, s[18:19]
	v_add_u32_e32 v2, s16, v2
	v_cmp_le_i32_e64 s[0:1], s17, v2
	s_or_b64 s[4:5], s[0:1], s[4:5]
	s_andn2_b64 exec, exec, s[4:5]
	s_cbranch_execz .LBB2_22
.LBB2_3:                                ; =>This Loop Header: Depth=1
                                        ;     Child Loop BB2_9 Depth 2
                                        ;       Child Loop BB2_11 Depth 3
	v_ashrrev_i32_e32 v3, 31, v2
	v_lshlrev_b64 v[0:1], 2, v[2:3]
	v_add_co_u32_e64 v0, s[0:1], s14, v0
	v_addc_co_u32_e64 v1, s[0:1], v13, v1, s[0:1]
	global_load_dword v6, v[0:1], off
	s_waitcnt vmcnt(0)
	v_ashrrev_i32_e32 v7, 31, v6
	v_lshlrev_b64 v[0:1], 2, v[6:7]
	s_and_saveexec_b64 s[2:3], vcc
	s_cbranch_execz .LBB2_5
; %bb.4:                                ;   in Loop: Header=BB2_3 Depth=1
	v_mov_b32_e32 v3, s13
	v_add_co_u32_e64 v4, s[0:1], s12, v0
	v_addc_co_u32_e64 v5, s[0:1], v3, v1, s[0:1]
	global_atomic_and v[4:5], v14, off
.LBB2_5:                                ;   in Loop: Header=BB2_3 Depth=1
	s_or_b64 exec, exec, s[2:3]
	v_add_co_u32_e64 v0, s[0:1], s8, v0
	v_addc_co_u32_e64 v1, s[0:1], v15, v1, s[0:1]
	global_load_dwordx2 v[0:1], v[0:1], off
	s_waitcnt vmcnt(0)
	v_add_u32_e32 v4, v1, v12
	v_cmp_ge_i32_e64 s[0:1], v4, v0
	s_and_saveexec_b64 s[18:19], s[0:1]
	s_cbranch_execz .LBB2_2
; %bb.6:                                ;   in Loop: Header=BB2_3 Depth=1
	v_lshl_or_b32 v6, v6, 2, s42
	s_mov_b64 s[20:21], 0
	s_branch .LBB2_9
.LBB2_7:                                ;   in Loop: Header=BB2_9 Depth=2
	s_or_b64 exec, exec, s[22:23]
	s_waitcnt vmcnt(0)
	v_readfirstlane_b32 s0, v3
	v_add_u32_e32 v10, s0, v1
	v_ashrrev_i32_e32 v11, 31, v10
	v_lshlrev_b64 v[10:11], 2, v[10:11]
	v_add_co_u32_e64 v10, s[0:1], s14, v10
	v_addc_co_u32_e64 v11, s[0:1], v13, v11, s[0:1]
	global_store_dword v[10:11], v8, off
.LBB2_8:                                ;   in Loop: Header=BB2_9 Depth=2
	s_or_b64 exec, exec, s[2:3]
	v_subrev_u32_e32 v4, 64, v4
	v_cmp_lt_i32_e64 s[0:1], v4, v0
	s_or_b64 s[20:21], s[0:1], s[20:21]
	s_andn2_b64 exec, exec, s[20:21]
	s_cbranch_execz .LBB2_2
.LBB2_9:                                ;   Parent Loop BB2_3 Depth=1
                                        ; =>  This Loop Header: Depth=2
                                        ;       Child Loop BB2_11 Depth 3
	v_ashrrev_i32_e32 v5, 31, v4
	v_lshlrev_b64 v[8:9], 2, v[4:5]
	v_mov_b32_e32 v1, s11
	v_add_co_u32_e64 v8, s[0:1], s10, v8
	v_addc_co_u32_e64 v9, s[0:1], v1, v9, s[0:1]
	global_load_dword v1, v[8:9], off
	v_mov_b32_e32 v3, s13
	s_mov_b64 s[26:27], 0
                                        ; implicit-def: $sgpr22_sgpr23
                                        ; implicit-def: $sgpr24_sgpr25
	s_waitcnt vmcnt(0)
	v_ashrrev_i32_e32 v8, 1, v1
	v_xor_b32_e32 v1, s33, v8
	v_ashrrev_i32_e32 v9, 31, v8
	v_xor_b32_e32 v5, v1, v6
	v_lshlrev_b64 v[10:11], 2, v[8:9]
	v_xor_b32_sdwa v5, v5, v5 dst_sel:DWORD dst_unused:UNUSED_PAD src0_sel:WORD_1 src1_sel:DWORD
	v_add_co_u32_e64 v10, s[0:1], s12, v10
	v_addc_co_u32_e64 v11, s[0:1], v3, v11, s[0:1]
	v_mul_lo_u32 v3, v5, s9
	v_xor_b32_sdwa v3, v3, v3 dst_sel:DWORD dst_unused:UNUSED_PAD src0_sel:WORD_1 src1_sel:DWORD
	v_mul_lo_u32 v3, v3, s9
	v_xor_b32_sdwa v3, v3, v3 dst_sel:DWORD dst_unused:UNUSED_PAD src0_sel:WORD_1 src1_sel:DWORD
	s_branch .LBB2_11
.LBB2_10:                               ;   in Loop: Header=BB2_11 Depth=3
	s_or_b64 exec, exec, s[30:31]
	s_and_b64 s[0:1], exec, s[28:29]
	s_or_b64 s[26:27], s[0:1], s[26:27]
	s_andn2_b64 s[0:1], s[22:23], exec
	s_and_b64 s[2:3], s[24:25], exec
	s_or_b64 s[22:23], s[0:1], s[2:3]
	s_andn2_b64 exec, exec, s[26:27]
	s_cbranch_execz .LBB2_19
.LBB2_11:                               ;   Parent Loop BB2_3 Depth=1
                                        ;     Parent Loop BB2_9 Depth=2
                                        ; =>    This Inner Loop Header: Depth=3
	global_load_dword v7, v[10:11], off glc
	s_mov_b64 s[28:29], -1
	s_mov_b64 s[2:3], -1
                                        ; implicit-def: $sgpr30_sgpr31
	s_waitcnt vmcnt(0)
	v_cmp_lt_i32_e64 s[0:1], -1, v7
	s_and_saveexec_b64 s[34:35], s[0:1]
	s_cbranch_execz .LBB2_17
; %bb.12:                               ;   in Loop: Header=BB2_11 Depth=3
	v_and_b32_e32 v5, 3, v7
	v_cmp_eq_u32_e64 s[0:1], s42, v5
	s_mov_b64 s[30:31], 0
	s_mov_b64 s[2:3], 0
	s_and_saveexec_b64 s[36:37], s[0:1]
	s_cbranch_execz .LBB2_16
; %bb.13:                               ;   in Loop: Header=BB2_11 Depth=3
	v_xor_b32_e32 v5, v7, v1
	v_xor_b32_sdwa v5, v5, v5 dst_sel:DWORD dst_unused:UNUSED_PAD src0_sel:WORD_1 src1_sel:DWORD
	v_mul_lo_u32 v5, v5, s9
	v_xor_b32_sdwa v5, v5, v5 dst_sel:DWORD dst_unused:UNUSED_PAD src0_sel:WORD_1 src1_sel:DWORD
	v_mul_lo_u32 v5, v5, s9
	v_xor_b32_sdwa v5, v5, v5 dst_sel:DWORD dst_unused:UNUSED_PAD src0_sel:WORD_1 src1_sel:DWORD
	v_cmp_lt_i32_e64 s[38:39], v5, v3
	v_cmp_ge_i32_e64 s[0:1], v5, v3
	s_and_saveexec_b64 s[40:41], s[0:1]
; %bb.14:                               ;   in Loop: Header=BB2_11 Depth=3
	v_cmp_eq_u32_e64 s[0:1], v5, v3
	v_cmp_lt_i32_e64 s[2:3], v7, v6
	s_and_b64 s[0:1], s[0:1], s[2:3]
	s_andn2_b64 s[2:3], s[38:39], exec
	s_and_b64 s[0:1], s[0:1], exec
	s_or_b64 s[38:39], s[2:3], s[0:1]
; %bb.15:                               ;   in Loop: Header=BB2_11 Depth=3
	s_or_b64 exec, exec, s[40:41]
	s_and_b64 s[2:3], s[38:39], exec
.LBB2_16:                               ;   in Loop: Header=BB2_11 Depth=3
	s_or_b64 exec, exec, s[36:37]
	s_orn2_b64 s[2:3], s[2:3], exec
.LBB2_17:                               ;   in Loop: Header=BB2_11 Depth=3
	s_or_b64 exec, exec, s[34:35]
	s_andn2_b64 s[0:1], s[24:25], exec
	s_and_b64 s[24:25], s[30:31], exec
	s_or_b64 s[24:25], s[0:1], s[24:25]
	s_and_saveexec_b64 s[30:31], s[2:3]
	s_cbranch_execz .LBB2_10
; %bb.18:                               ;   in Loop: Header=BB2_11 Depth=3
	global_atomic_cmpswap v5, v[10:11], v[6:7], off glc
	v_cmp_gt_i32_e64 s[0:1], 0, v7
	s_andn2_b64 s[2:3], s[24:25], exec
	s_and_b64 s[24:25], s[0:1], exec
	s_or_b64 s[24:25], s[2:3], s[24:25]
	s_waitcnt vmcnt(0)
	v_cmp_eq_u32_e64 s[0:1], v5, v7
	s_orn2_b64 s[28:29], s[0:1], exec
	s_branch .LBB2_10
.LBB2_19:                               ;   in Loop: Header=BB2_9 Depth=2
	s_or_b64 exec, exec, s[26:27]
	s_and_saveexec_b64 s[2:3], s[22:23]
	s_cbranch_execz .LBB2_8
; %bb.20:                               ;   in Loop: Header=BB2_9 Depth=2
	s_mov_b64 s[24:25], exec
	v_mbcnt_lo_u32_b32 v1, s24, 0
	v_mbcnt_hi_u32_b32 v1, s25, v1
	v_cmp_eq_u32_e64 s[0:1], 0, v1
                                        ; implicit-def: $vgpr3
	s_and_saveexec_b64 s[22:23], s[0:1]
	s_cbranch_execz .LBB2_7
; %bb.21:                               ;   in Loop: Header=BB2_9 Depth=2
	s_bcnt1_i32_b64 s0, s[24:25]
	v_mov_b32_e32 v3, s0
	global_atomic_add v3, v16, v3, s[6:7] glc
	s_branch .LBB2_7
.LBB2_22:
	s_endpgm
	.section	.rodata,"a",@progbits
	.p2align	6, 0x0
	.amdhsa_kernel _ZL20generateSpanningTreeiPKiS0_iP8EdgeInfoPiS3_iS3_ii
		.amdhsa_group_segment_fixed_size 0
		.amdhsa_private_segment_fixed_size 0
		.amdhsa_kernarg_size 336
		.amdhsa_user_sgpr_count 6
		.amdhsa_user_sgpr_private_segment_buffer 1
		.amdhsa_user_sgpr_dispatch_ptr 0
		.amdhsa_user_sgpr_queue_ptr 0
		.amdhsa_user_sgpr_kernarg_segment_ptr 1
		.amdhsa_user_sgpr_dispatch_id 0
		.amdhsa_user_sgpr_flat_scratch_init 0
		.amdhsa_user_sgpr_kernarg_preload_length 0
		.amdhsa_user_sgpr_kernarg_preload_offset 0
		.amdhsa_user_sgpr_private_segment_size 0
		.amdhsa_uses_dynamic_stack 0
		.amdhsa_system_sgpr_private_segment_wavefront_offset 0
		.amdhsa_system_sgpr_workgroup_id_x 1
		.amdhsa_system_sgpr_workgroup_id_y 0
		.amdhsa_system_sgpr_workgroup_id_z 0
		.amdhsa_system_sgpr_workgroup_info 0
		.amdhsa_system_vgpr_workitem_id 0
		.amdhsa_next_free_vgpr 17
		.amdhsa_next_free_sgpr 43
		.amdhsa_accum_offset 20
		.amdhsa_reserve_vcc 1
		.amdhsa_reserve_flat_scratch 0
		.amdhsa_float_round_mode_32 0
		.amdhsa_float_round_mode_16_64 0
		.amdhsa_float_denorm_mode_32 3
		.amdhsa_float_denorm_mode_16_64 3
		.amdhsa_dx10_clamp 1
		.amdhsa_ieee_mode 1
		.amdhsa_fp16_overflow 0
		.amdhsa_tg_split 0
		.amdhsa_exception_fp_ieee_invalid_op 0
		.amdhsa_exception_fp_denorm_src 0
		.amdhsa_exception_fp_ieee_div_zero 0
		.amdhsa_exception_fp_ieee_overflow 0
		.amdhsa_exception_fp_ieee_underflow 0
		.amdhsa_exception_fp_ieee_inexact 0
		.amdhsa_exception_int_div_zero 0
	.end_amdhsa_kernel
	.section	.text._ZL20generateSpanningTreeiPKiS0_iP8EdgeInfoPiS3_iS3_ii,"axG",@progbits,_ZL20generateSpanningTreeiPKiS0_iP8EdgeInfoPiS3_iS3_ii,comdat
.Lfunc_end2:
	.size	_ZL20generateSpanningTreeiPKiS0_iP8EdgeInfoPiS3_iS3_ii, .Lfunc_end2-_ZL20generateSpanningTreeiPKiS0_iP8EdgeInfoPiS3_iS3_ii
                                        ; -- End function
	.section	.AMDGPU.csdata,"",@progbits
; Kernel info:
; codeLenInByte = 916
; NumSgprs: 47
; NumVgprs: 17
; NumAgprs: 0
; TotalNumVgprs: 17
; ScratchSize: 0
; MemoryBound: 0
; FloatMode: 240
; IeeeMode: 1
; LDSByteSize: 0 bytes/workgroup (compile time only)
; SGPRBlocks: 5
; VGPRBlocks: 2
; NumSGPRsForWavesPerEU: 47
; NumVGPRsForWavesPerEU: 17
; AccumOffset: 20
; Occupancy: 8
; WaveLimiterHint : 1
; COMPUTE_PGM_RSRC2:SCRATCH_EN: 0
; COMPUTE_PGM_RSRC2:USER_SGPR: 6
; COMPUTE_PGM_RSRC2:TRAP_HANDLER: 0
; COMPUTE_PGM_RSRC2:TGID_X_EN: 1
; COMPUTE_PGM_RSRC2:TGID_Y_EN: 0
; COMPUTE_PGM_RSRC2:TGID_Z_EN: 0
; COMPUTE_PGM_RSRC2:TIDIG_COMP_CNT: 0
; COMPUTE_PGM_RSRC3_GFX90A:ACCUM_OFFSET: 4
; COMPUTE_PGM_RSRC3_GFX90A:TG_SPLIT: 0
	.section	.text._ZL9rootcountPKiS0_Piiii,"axG",@progbits,_ZL9rootcountPKiS0_Piiii,comdat
	.globl	_ZL9rootcountPKiS0_Piiii        ; -- Begin function _ZL9rootcountPKiS0_Piiii
	.p2align	8
	.type	_ZL9rootcountPKiS0_Piiii,@function
_ZL9rootcountPKiS0_Piiii:               ; @_ZL9rootcountPKiS0_Piiii
; %bb.0:
	s_load_dwordx2 s[2:3], s[4:5], 0x1c
	s_lshl_b32 s0, s6, 8
	s_waitcnt lgkmcnt(0)
	s_add_i32 s0, s2, s0
	v_add_u32_e32 v0, s0, v0
	v_cmp_gt_i32_e32 vcc, s3, v0
	s_and_saveexec_b64 s[0:1], vcc
	s_cbranch_execz .LBB3_3
; %bb.1:
	s_load_dword s0, s[4:5], 0x28
	s_load_dwordx4 s[8:11], s[4:5], 0x0
	s_load_dwordx2 s[6:7], s[4:5], 0x10
	v_ashrrev_i32_e32 v1, 31, v0
	v_lshlrev_b64 v[2:3], 2, v[0:1]
	s_waitcnt lgkmcnt(0)
	s_lshl_b32 s4, s0, 8
	s_ashr_i32 s5, s4, 31
	v_mov_b32_e32 v1, s11
	v_add_co_u32_e32 v2, vcc, s10, v2
	s_lshl_b64 s[10:11], s[4:5], 2
	v_addc_co_u32_e32 v3, vcc, v1, v3, vcc
	s_mov_b64 s[12:13], 0
	v_mov_b32_e32 v1, s9
	v_mov_b32_e32 v4, s7
	;; [unrolled: 1-line block ×3, first 2 shown]
.LBB3_2:                                ; =>This Inner Loop Header: Depth=1
	global_load_dword v6, v[2:3], off
	v_add_u32_e32 v0, s4, v0
	v_cmp_le_i32_e64 s[0:1], s3, v0
	s_or_b64 s[12:13], s[0:1], s[12:13]
	s_waitcnt vmcnt(0)
	v_ashrrev_i32_e32 v7, 31, v6
	v_lshlrev_b64 v[6:7], 2, v[6:7]
	v_add_co_u32_e32 v8, vcc, s8, v6
	v_addc_co_u32_e32 v9, vcc, v1, v7, vcc
	global_load_dword v8, v[8:9], off
	v_add_co_u32_e32 v6, vcc, s6, v6
	v_addc_co_u32_e32 v7, vcc, v4, v7, vcc
	global_load_dword v9, v[6:7], off
	s_waitcnt vmcnt(1)
	v_ashrrev_i32_e32 v6, 2, v8
	v_ashrrev_i32_e32 v7, 31, v6
	v_lshlrev_b64 v[6:7], 2, v[6:7]
	v_add_co_u32_e32 v6, vcc, s6, v6
	v_addc_co_u32_e32 v7, vcc, v4, v7, vcc
	s_waitcnt vmcnt(0)
	global_atomic_add v[6:7], v9, off
	v_add_co_u32_e32 v2, vcc, s10, v2
	v_addc_co_u32_e32 v3, vcc, v3, v5, vcc
	s_andn2_b64 exec, exec, s[12:13]
	s_cbranch_execnz .LBB3_2
.LBB3_3:
	s_endpgm
	.section	.rodata,"a",@progbits
	.p2align	6, 0x0
	.amdhsa_kernel _ZL9rootcountPKiS0_Piiii
		.amdhsa_group_segment_fixed_size 0
		.amdhsa_private_segment_fixed_size 0
		.amdhsa_kernarg_size 296
		.amdhsa_user_sgpr_count 6
		.amdhsa_user_sgpr_private_segment_buffer 1
		.amdhsa_user_sgpr_dispatch_ptr 0
		.amdhsa_user_sgpr_queue_ptr 0
		.amdhsa_user_sgpr_kernarg_segment_ptr 1
		.amdhsa_user_sgpr_dispatch_id 0
		.amdhsa_user_sgpr_flat_scratch_init 0
		.amdhsa_user_sgpr_kernarg_preload_length 0
		.amdhsa_user_sgpr_kernarg_preload_offset 0
		.amdhsa_user_sgpr_private_segment_size 0
		.amdhsa_uses_dynamic_stack 0
		.amdhsa_system_sgpr_private_segment_wavefront_offset 0
		.amdhsa_system_sgpr_workgroup_id_x 1
		.amdhsa_system_sgpr_workgroup_id_y 0
		.amdhsa_system_sgpr_workgroup_id_z 0
		.amdhsa_system_sgpr_workgroup_info 0
		.amdhsa_system_vgpr_workitem_id 0
		.amdhsa_next_free_vgpr 10
		.amdhsa_next_free_sgpr 14
		.amdhsa_accum_offset 12
		.amdhsa_reserve_vcc 1
		.amdhsa_reserve_flat_scratch 0
		.amdhsa_float_round_mode_32 0
		.amdhsa_float_round_mode_16_64 0
		.amdhsa_float_denorm_mode_32 3
		.amdhsa_float_denorm_mode_16_64 3
		.amdhsa_dx10_clamp 1
		.amdhsa_ieee_mode 1
		.amdhsa_fp16_overflow 0
		.amdhsa_tg_split 0
		.amdhsa_exception_fp_ieee_invalid_op 0
		.amdhsa_exception_fp_denorm_src 0
		.amdhsa_exception_fp_ieee_div_zero 0
		.amdhsa_exception_fp_ieee_overflow 0
		.amdhsa_exception_fp_ieee_underflow 0
		.amdhsa_exception_fp_ieee_inexact 0
		.amdhsa_exception_int_div_zero 0
	.end_amdhsa_kernel
	.section	.text._ZL9rootcountPKiS0_Piiii,"axG",@progbits,_ZL9rootcountPKiS0_Piiii,comdat
.Lfunc_end3:
	.size	_ZL9rootcountPKiS0_Piiii, .Lfunc_end3-_ZL9rootcountPKiS0_Piiii
                                        ; -- End function
	.section	.AMDGPU.csdata,"",@progbits
; Kernel info:
; codeLenInByte = 248
; NumSgprs: 18
; NumVgprs: 10
; NumAgprs: 0
; TotalNumVgprs: 10
; ScratchSize: 0
; MemoryBound: 0
; FloatMode: 240
; IeeeMode: 1
; LDSByteSize: 0 bytes/workgroup (compile time only)
; SGPRBlocks: 2
; VGPRBlocks: 1
; NumSGPRsForWavesPerEU: 18
; NumVGPRsForWavesPerEU: 10
; AccumOffset: 12
; Occupancy: 8
; WaveLimiterHint : 1
; COMPUTE_PGM_RSRC2:SCRATCH_EN: 0
; COMPUTE_PGM_RSRC2:USER_SGPR: 6
; COMPUTE_PGM_RSRC2:TRAP_HANDLER: 0
; COMPUTE_PGM_RSRC2:TGID_X_EN: 1
; COMPUTE_PGM_RSRC2:TGID_Y_EN: 0
; COMPUTE_PGM_RSRC2:TGID_Z_EN: 0
; COMPUTE_PGM_RSRC2:TIDIG_COMP_CNT: 0
; COMPUTE_PGM_RSRC3_GFX90A:ACCUM_OFFSET: 2
; COMPUTE_PGM_RSRC3_GFX90A:TG_SPLIT: 0
	.section	.text._ZL9treelabeliPKiPViP8EdgeInfoS2_S2_S0_S0_Piiii,"axG",@progbits,_ZL9treelabeliPKiPViP8EdgeInfoS2_S2_S0_S0_Piiii,comdat
	.globl	_ZL9treelabeliPKiPViP8EdgeInfoS2_S2_S0_S0_Piiii ; -- Begin function _ZL9treelabeliPKiPViP8EdgeInfoS2_S2_S0_S0_Piiii
	.p2align	8
	.type	_ZL9treelabeliPKiPViP8EdgeInfoS2_S2_S0_S0_Piiii,@function
_ZL9treelabeliPKiPViP8EdgeInfoS2_S2_S0_S0_Piiii: ; @_ZL9treelabeliPKiPViP8EdgeInfoS2_S2_S0_S0_Piiii
; %bb.0:
	s_load_dwordx2 s[28:29], s[4:5], 0x4c
	s_add_u32 flat_scratch_lo, s6, s9
	v_lshl_add_u32 v1, s8, 8, v0
	s_addc_u32 flat_scratch_hi, s7, 0
	v_lshrrev_b32_e32 v1, 6, v1
	s_add_u32 s0, s0, s9
	s_waitcnt lgkmcnt(0)
	v_add_u32_e32 v2, s28, v1
	s_addc_u32 s1, s1, 0
	v_cmp_gt_i32_e32 vcc, s29, v2
	s_and_saveexec_b64 s[6:7], vcc
	s_cbranch_execz .LBB4_65
; %bb.1:
	s_load_dword s6, s[4:5], 0x58
	s_load_dwordx8 s[20:27], s[4:5], 0x8
	s_load_dwordx8 s[36:43], s[4:5], 0x28
	v_and_b32_e32 v32, 63, v0
	v_lshlrev_b64 v[0:1], v0, -1
	s_waitcnt lgkmcnt(0)
	s_lshl_b32 s4, s6, 2
	s_and_b32 s28, s4, 0x3fffffc
	s_add_u32 s33, s24, 4
	s_mov_b64 s[30:31], src_private_base
	s_addc_u32 s16, s25, 0
	v_mbcnt_lo_u32_b32 v3, -1, 0
	v_not_b32_e32 v1, v1
	v_not_b32_e32 v0, v0
	v_cmp_eq_u32_e64 s[4:5], 0, v32
	v_cmp_gt_u32_e64 s[6:7], 2, v32
	v_cmp_gt_u32_e64 s[8:9], 4, v32
	;; [unrolled: 1-line block ×5, first 2 shown]
	s_mov_b32 s30, 0
	s_mov_b64 s[34:35], 0
	v_mov_b32_e32 v33, s41
	v_mov_b32_e32 v34, s39
	v_mov_b32_e32 v35, s43
	v_mov_b32_e32 v36, s21
	v_mov_b32_e32 v37, s23
	v_mov_b32_e32 v38, s16
	v_mov_b32_e32 v5, 0
	v_mbcnt_hi_u32_b32 v39, -1, v3
	v_bfrev_b32_e32 v40, 0.5
                                        ; implicit-def: $vgpr46
                                        ; implicit-def: $vgpr44
                                        ; implicit-def: $vgpr41
                                        ; implicit-def: $vgpr42
                                        ; implicit-def: $vgpr48
                                        ; implicit-def: $vgpr45
                                        ; implicit-def: $vgpr43
                                        ; implicit-def: $vgpr47
                                        ; implicit-def: $vgpr49
                                        ; implicit-def: $vgpr6_vgpr7
                                        ; implicit-def: $vgpr8_vgpr9
                                        ; implicit-def: $vgpr10_vgpr11
	s_branch .LBB4_3
.LBB4_2:                                ;   in Loop: Header=BB4_3 Depth=1
	s_or_b64 exec, exec, s[16:17]
	v_add_u32_e32 v2, s28, v2
	v_cmp_le_i32_e32 vcc, s29, v2
	s_or_b64 s[34:35], vcc, s[34:35]
	s_andn2_b64 exec, exec, s[34:35]
	s_cbranch_execz .LBB4_65
.LBB4_3:                                ; =>This Loop Header: Depth=1
                                        ;     Child Loop BB4_5 Depth 2
                                        ;     Child Loop BB4_21 Depth 2
	;; [unrolled: 1-line block ×4, first 2 shown]
	v_ashrrev_i32_e32 v3, 31, v2
	v_lshlrev_b64 v[12:13], 2, v[2:3]
	v_add_co_u32_e32 v12, vcc, s40, v12
	v_addc_co_u32_e32 v13, vcc, v33, v13, vcc
	s_waitcnt lgkmcnt(0)
	global_load_dword v14, v[12:13], off
	s_waitcnt vmcnt(0)
	v_ashrrev_i32_e32 v15, 31, v14
	v_lshlrev_b64 v[12:13], 2, v[14:15]
	v_add_co_u32_e32 v16, vcc, s38, v12
	v_addc_co_u32_e32 v17, vcc, v34, v13, vcc
	v_add_co_u32_e32 v18, vcc, s42, v12
	v_addc_co_u32_e32 v19, vcc, v35, v13, vcc
	;; [unrolled: 2-line block ×3, first 2 shown]
	global_load_dword v4, v[16:17], off
	global_load_dword v3, v[18:19], off
	global_load_dwordx2 v[12:13], v[20:21], off
	s_waitcnt vmcnt(2)
	v_ashrrev_i32_e32 v50, 2, v4
	s_waitcnt vmcnt(1)
	v_ashrrev_i32_e32 v4, 1, v3
	s_waitcnt vmcnt(0)
	v_add_u32_e32 v16, v12, v32
	v_ashrrev_i32_e32 v17, 31, v16
	v_lshlrev_b64 v[22:23], 2, v[16:17]
	v_add_co_u32_e64 v18, s[16:17], s22, v22
	v_lshlrev_b64 v[20:21], 3, v[16:17]
	v_addc_co_u32_e64 v19, vcc, v37, v23, s[16:17]
	v_add_co_u32_e32 v24, vcc, s33, v20
	v_add_u32_e32 v28, 1, v4
	v_addc_co_u32_e32 v25, vcc, v38, v21, vcc
	v_pk_mov_b32 v[26:27], v[18:19], v[18:19] op_sel:[0,1]
	v_mov_b32_e32 v4, v16
	s_branch .LBB4_5
.LBB4_4:                                ;   in Loop: Header=BB4_5 Depth=2
	s_or_b64 exec, exec, s[18:19]
	v_add_co_u32_e32 v26, vcc, 0x100, v26
	v_addc_co_u32_e32 v27, vcc, 0, v27, vcc
	v_lshl_or_b32 v17, v39, 2, v40
	v_add_co_u32_e32 v24, vcc, 0x200, v24
	ds_bpermute_b32 v28, v17, v30
	v_add_u32_e32 v4, 64, v4
	v_addc_co_u32_e32 v25, vcc, 0, v25, vcc
.LBB4_5:                                ;   Parent Loop BB4_3 Depth=1
                                        ; =>  This Inner Loop Header: Depth=2
	v_cmp_lt_i32_e64 s[18:19], v4, v13
	v_cndmask_b32_e64 v17, 0, 1, s[18:19]
	s_waitcnt lgkmcnt(0)
	v_mov_b32_e32 v15, v28
	;;#ASMSTART
	;;#ASMEND
	v_cmp_ne_u32_e32 vcc, 0, v17
	s_cbranch_vccz .LBB4_14
; %bb.6:                                ;   in Loop: Header=BB4_5 Depth=2
	s_mov_b64 s[46:47], 0
	v_mov_b32_e32 v28, -1
	v_mov_b32_e32 v17, 0
	s_and_saveexec_b64 s[44:45], s[18:19]
	s_cbranch_execz .LBB4_12
; %bb.7:                                ;   in Loop: Header=BB4_5 Depth=2
	flat_load_dword v28, v[26:27] glc
	s_waitcnt vmcnt(0)
	v_mov_b32_e32 v17, 0
	s_waitcnt lgkmcnt(0)
	v_ashrrev_i32_e32 v30, 1, v28
	v_cmp_ne_u32_e32 vcc, v30, v50
	v_mov_b32_e32 v28, v50
	s_and_saveexec_b64 s[18:19], vcc
	s_cbranch_execz .LBB4_11
; %bb.8:                                ;   in Loop: Header=BB4_5 Depth=2
	v_ashrrev_i32_e32 v31, 31, v30
	v_lshlrev_b64 v[28:29], 2, v[30:31]
	v_mov_b32_e32 v17, s39
	v_add_co_u32_e32 v52, vcc, s38, v28
	v_addc_co_u32_e32 v53, vcc, v17, v29, vcc
	global_load_dword v17, v[52:53], off
	s_waitcnt vmcnt(0)
	v_ashrrev_i32_e32 v17, 2, v17
	v_cmp_eq_u32_e32 vcc, v17, v14
	v_mov_b32_e32 v17, 0
	s_and_saveexec_b64 s[48:49], vcc
	s_cbranch_execz .LBB4_10
; %bb.9:                                ;   in Loop: Header=BB4_5 Depth=2
	v_mov_b32_e32 v17, s43
	v_add_co_u32_e32 v28, vcc, s42, v28
	v_addc_co_u32_e32 v29, vcc, v17, v29, vcc
	global_load_dword v17, v[28:29], off
	s_mov_b64 s[46:47], exec
.LBB4_10:                               ;   in Loop: Header=BB4_5 Depth=2
	s_or_b64 exec, exec, s[48:49]
	s_and_b64 s[46:47], s[46:47], exec
	v_mov_b32_e32 v28, v30
.LBB4_11:                               ;   in Loop: Header=BB4_5 Depth=2
	s_or_b64 exec, exec, s[18:19]
	s_and_b64 s[46:47], s[46:47], exec
.LBB4_12:                               ;   in Loop: Header=BB4_5 Depth=2
	s_or_b64 exec, exec, s[44:45]
	v_and_b32_e32 v29, 64, v39
	v_add_u32_e32 v30, -1, v39
	v_cmp_lt_i32_e32 vcc, v30, v29
	v_cndmask_b32_e32 v30, v30, v39, vcc
	v_lshlrev_b32_e32 v30, 2, v30
	s_waitcnt vmcnt(0)
	ds_bpermute_b32 v30, v30, v17
	v_add_u32_e32 v31, -2, v39
	v_cmp_lt_i32_e32 vcc, v31, v29
	v_cndmask_b32_e32 v31, v31, v39, vcc
	v_lshlrev_b32_e32 v31, 2, v31
	s_waitcnt lgkmcnt(0)
	v_cndmask_b32_e64 v30, v30, 0, s[4:5]
	v_add_u32_e32 v30, v30, v17
	ds_bpermute_b32 v31, v31, v30
	v_add_u32_e32 v51, -4, v39
	v_cmp_lt_i32_e32 vcc, v51, v29
	s_waitcnt lgkmcnt(0)
	v_cndmask_b32_e64 v31, v31, 0, s[6:7]
	v_add_u32_e32 v30, v31, v30
	v_cndmask_b32_e32 v31, v51, v39, vcc
	v_lshlrev_b32_e32 v31, 2, v31
	ds_bpermute_b32 v31, v31, v30
	v_add_u32_e32 v51, -8, v39
	v_cmp_lt_i32_e32 vcc, v51, v29
	s_waitcnt lgkmcnt(0)
	v_cndmask_b32_e64 v31, v31, 0, s[8:9]
	v_add_u32_e32 v30, v31, v30
	v_cndmask_b32_e32 v31, v51, v39, vcc
	v_lshlrev_b32_e32 v31, 2, v31
	;; [unrolled: 8-line block ×3, first 2 shown]
	ds_bpermute_b32 v31, v31, v30
	v_subrev_u32_e32 v51, 32, v39
	v_cmp_lt_i32_e32 vcc, v51, v29
	v_cndmask_b32_e32 v29, v51, v39, vcc
	v_lshlrev_b32_e32 v29, 2, v29
	s_waitcnt lgkmcnt(0)
	v_cndmask_b32_e64 v31, v31, 0, s[12:13]
	v_add_u32_e32 v30, v31, v30
	ds_bpermute_b32 v29, v29, v30
	s_waitcnt lgkmcnt(0)
	v_cndmask_b32_e64 v29, v29, 0, s[14:15]
	v_add_u32_e32 v29, v29, v30
	v_add_u32_e32 v30, v29, v15
	s_and_saveexec_b64 s[18:19], s[46:47]
	s_cbranch_execz .LBB4_4
; %bb.13:                               ;   in Loop: Header=BB4_5 Depth=2
	v_ashrrev_i32_e32 v29, 31, v28
	v_sub_u32_e32 v17, v30, v17
	v_lshlrev_b64 v[28:29], 2, v[28:29]
	v_lshlrev_b32_e32 v52, 1, v17
	v_mov_b32_e32 v17, s43
	v_add_co_u32_e32 v28, vcc, s42, v28
	v_addc_co_u32_e32 v29, vcc, v17, v29, vcc
	global_store_dword v[28:29], v52, off
	global_load_dword v17, v[24:25], off
	s_waitcnt vmcnt(0)
	v_and_b32_e32 v17, 1, v17
	v_lshl_or_b32 v17, v30, 1, v17
	v_add_u32_e32 v53, -2, v17
	global_store_dwordx2 v[24:25], v[52:53], off offset:-4
	flat_load_dword v17, v[26:27] glc
	s_waitcnt vmcnt(0) lgkmcnt(0)
	v_or_b32_e32 v17, 1, v17
	flat_store_dword v[26:27], v17
	s_waitcnt vmcnt(0)
	s_branch .LBB4_4
.LBB4_14:                               ;   in Loop: Header=BB4_5 Depth=2
                                        ; implicit-def: $vgpr28
                                        ; implicit-def: $vgpr4
                                        ; implicit-def: $vgpr26_vgpr27
                                        ; implicit-def: $vgpr24_vgpr25
	s_cbranch_execz .LBB4_5
; %bb.15:                               ;   in Loop: Header=BB4_3 Depth=1
	v_sub_u32_e32 v4, v13, v12
	v_cmp_lt_i32_e32 vcc, 0, v4
	s_and_saveexec_b64 s[44:45], vcc
	s_cbranch_execz .LBB4_47
; %bb.16:                               ;   in Loop: Header=BB4_3 Depth=1
	v_cmp_lt_u32_e32 vcc, 64, v4
	s_and_saveexec_b64 s[18:19], vcc
	s_xor_b64 s[46:47], exec, s[18:19]
	s_cbranch_execz .LBB4_38
; %bb.17:                               ;   in Loop: Header=BB4_3 Depth=1
	v_mov_b32_e32 v4, s25
	v_add_co_u32_e32 v20, vcc, s24, v20
	v_addc_co_u32_e32 v21, vcc, v4, v21, vcc
	v_mov_b32_e32 v4, s23
	v_addc_co_u32_e64 v25, vcc, v4, v23, s[16:17]
	v_mov_b32_e32 v24, v18
	global_load_dwordx2 v[20:21], v[20:21], off
	v_mov_b32_e32 v4, s27
	flat_load_dword v29, v[24:25] glc
	s_waitcnt vmcnt(0)
	v_add_co_u32_e32 v24, vcc, s26, v22
	v_addc_co_u32_e32 v25, vcc, v4, v23, vcc
	v_mov_b32_e32 v4, s37
	v_add_co_u32_e32 v22, vcc, s36, v22
	v_addc_co_u32_e32 v23, vcc, v4, v23, vcc
	flat_load_dword v31, v[24:25] glc
	s_waitcnt vmcnt(0)
	flat_load_dword v30, v[22:23] glc
	s_waitcnt vmcnt(0)
	v_add_u32_e32 v4, -1, v13
	v_add_u32_e32 v17, 64, v12
	v_mov_b32_e32 v23, 1
	s_waitcnt lgkmcnt(0)
	v_mov_b32_e32 v28, v12
	s_branch .LBB4_21
.LBB4_18:                               ;   in Loop: Header=BB4_21 Depth=2
	s_or_b64 exec, exec, s[52:53]
.LBB4_19:                               ;   in Loop: Header=BB4_21 Depth=2
	s_or_b64 exec, exec, s[50:51]
	s_bcnt1_i32_b64 s18, vcc
	v_add_u32_e32 v17, s18, v17
.LBB4_20:                               ;   in Loop: Header=BB4_21 Depth=2
	s_or_b64 exec, exec, s[48:49]
	v_cmp_eq_u32_e32 vcc, 1, v23
	v_cndmask_b32_e64 v22, 0, 1, vcc
	;;#ASMSTART
	;;#ASMEND
	v_cmp_ne_u32_e32 vcc, 0, v22
	s_cbranch_vccz .LBB4_37
.LBB4_21:                               ;   Parent Loop BB4_3 Depth=1
                                        ; =>  This Inner Loop Header: Depth=2
	v_cmp_eq_u32_e32 vcc, 1, v23
	s_and_saveexec_b64 s[18:19], vcc
	s_cbranch_execz .LBB4_25
; %bb.22:                               ;   in Loop: Header=BB4_21 Depth=2
	s_waitcnt lgkmcnt(0)
	v_ashrrev_i32_e32 v22, 1, v29
	v_cmp_ne_u32_e32 vcc, v22, v50
	s_mov_b64 s[50:51], 0
	s_and_saveexec_b64 s[48:49], vcc
	s_cbranch_execz .LBB4_24
; %bb.23:                               ;   in Loop: Header=BB4_21 Depth=2
	v_ashrrev_i32_e32 v23, 31, v22
	v_lshlrev_b64 v[22:23], 2, v[22:23]
	v_mov_b32_e32 v24, s39
	v_add_co_u32_e32 v22, vcc, s38, v22
	v_addc_co_u32_e32 v23, vcc, v24, v23, vcc
	global_load_dword v22, v[22:23], off
	s_waitcnt vmcnt(0)
	v_ashrrev_i32_e32 v22, 2, v22
	v_cmp_eq_u32_e32 vcc, v22, v14
	s_and_b64 s[50:51], vcc, exec
.LBB4_24:                               ;   in Loop: Header=BB4_21 Depth=2
	s_or_b64 exec, exec, s[48:49]
	v_cndmask_b32_e64 v23, 3, 2, s[50:51]
.LBB4_25:                               ;   in Loop: Header=BB4_21 Depth=2
	s_or_b64 exec, exec, s[18:19]
	v_cmp_eq_u32_e32 vcc, 2, v23
	s_and_saveexec_b64 s[48:49], vcc
	s_cbranch_execz .LBB4_29
; %bb.26:                               ;   in Loop: Header=BB4_21 Depth=2
	v_and_b32_e32 v23, vcc_lo, v0
	v_and_b32_e32 v22, vcc_hi, v1
	v_bcnt_u32_b32 v23, v23, 0
	v_bcnt_u32_b32 v22, v22, v23
	v_add_u32_e32 v22, v28, v22
	v_ashrrev_i32_e32 v23, 31, v22
	v_cmp_ge_i32_e64 s[18:19], v22, v17
	v_lshlrev_b64 v[26:27], 3, v[22:23]
	v_lshlrev_b64 v[24:25], 2, v[22:23]
	s_and_saveexec_b64 s[50:51], s[18:19]
	s_cbranch_execz .LBB4_28
; %bb.27:                               ;   in Loop: Header=BB4_21 Depth=2
	v_mov_b32_e32 v9, s25
	v_add_co_u32_e64 v8, s[18:19], s24, v26
	v_addc_co_u32_e64 v9, s[18:19], v9, v27, s[18:19]
	v_mov_b32_e32 v23, s27
	v_add_co_u32_e64 v52, s[18:19], s26, v24
	v_addc_co_u32_e64 v53, s[18:19], v23, v25, s[18:19]
	global_load_dwordx2 v[8:9], v[8:9], off
	v_mov_b32_e32 v23, s37
	flat_load_dword v43, v[52:53] glc
	s_waitcnt vmcnt(0)
	v_add_co_u32_e64 v52, s[18:19], s36, v24
	v_addc_co_u32_e64 v53, s[18:19], v23, v25, s[18:19]
	flat_load_dword v45, v[52:53] glc
	s_waitcnt vmcnt(0)
	v_mov_b32_e32 v23, s23
	v_add_co_u32_e64 v52, s[18:19], s22, v24
	v_addc_co_u32_e64 v53, s[18:19], v23, v25, s[18:19]
	flat_load_dword v48, v[52:53] glc
	s_waitcnt vmcnt(0)
.LBB4_28:                               ;   in Loop: Header=BB4_21 Depth=2
	s_or_b64 exec, exec, s[50:51]
	v_mov_b32_e32 v23, s25
	v_add_co_u32_e64 v26, s[18:19], s24, v26
	v_addc_co_u32_e64 v27, s[18:19], v23, v27, s[18:19]
	global_store_dwordx2 v[26:27], v[20:21], off
	v_mov_b32_e32 v21, s27
	v_add_co_u32_e64 v20, s[18:19], s26, v24
	v_addc_co_u32_e64 v21, s[18:19], v21, v25, s[18:19]
	s_waitcnt lgkmcnt(0)
	flat_store_dword v[20:21], v31
	s_waitcnt vmcnt(0)
	v_mov_b32_e32 v21, s37
	v_add_co_u32_e64 v20, s[18:19], s36, v24
	v_addc_co_u32_e64 v21, s[18:19], v21, v25, s[18:19]
	flat_store_dword v[20:21], v30
	s_waitcnt vmcnt(0)
	v_mov_b32_e32 v21, s23
	v_add_co_u32_e64 v20, s[18:19], s22, v24
	v_addc_co_u32_e64 v21, s[18:19], v21, v25, s[18:19]
	v_cmp_ge_i32_e64 s[18:19], v22, v17
	flat_store_dword v[20:21], v29
	s_waitcnt vmcnt(0)
	v_cndmask_b32_e64 v23, 0, 1, s[18:19]
	v_pk_mov_b32 v[20:21], v[8:9], v[8:9] op_sel:[0,1]
	s_waitcnt lgkmcnt(0)
	v_mov_b32_e32 v30, v45
	v_mov_b32_e32 v31, v43
	;; [unrolled: 1-line block ×3, first 2 shown]
.LBB4_29:                               ;   in Loop: Header=BB4_21 Depth=2
	s_or_b64 exec, exec, s[48:49]
	s_bcnt1_i32_b64 s18, vcc
	v_add_u32_e32 v28, s18, v28
	v_max_i32_e32 v17, v17, v28
	v_cmp_eq_u32_e32 vcc, 3, v23
	s_and_saveexec_b64 s[48:49], vcc
	s_cbranch_execz .LBB4_33
; %bb.30:                               ;   in Loop: Header=BB4_21 Depth=2
	v_and_b32_e32 v23, vcc_lo, v0
	v_and_b32_e32 v22, vcc_hi, v1
	v_bcnt_u32_b32 v23, v23, 0
	v_bcnt_u32_b32 v22, v22, v23
	v_sub_u32_e32 v22, v4, v22
	v_ashrrev_i32_e32 v23, 31, v22
	v_cmp_ge_i32_e64 s[18:19], v22, v17
	v_lshlrev_b64 v[26:27], 3, v[22:23]
	v_lshlrev_b64 v[24:25], 2, v[22:23]
	s_and_saveexec_b64 s[50:51], s[18:19]
	s_cbranch_execz .LBB4_32
; %bb.31:                               ;   in Loop: Header=BB4_21 Depth=2
	v_mov_b32_e32 v11, s25
	v_add_co_u32_e64 v10, s[18:19], s24, v26
	v_addc_co_u32_e64 v11, s[18:19], v11, v27, s[18:19]
	v_mov_b32_e32 v23, s27
	v_add_co_u32_e64 v52, s[18:19], s26, v24
	v_addc_co_u32_e64 v53, s[18:19], v23, v25, s[18:19]
	global_load_dwordx2 v[10:11], v[10:11], off
	v_mov_b32_e32 v23, s37
	flat_load_dword v41, v[52:53] glc
	s_waitcnt vmcnt(0)
	v_add_co_u32_e64 v52, s[18:19], s36, v24
	v_addc_co_u32_e64 v53, s[18:19], v23, v25, s[18:19]
	flat_load_dword v44, v[52:53] glc
	s_waitcnt vmcnt(0)
	v_mov_b32_e32 v23, s23
	v_add_co_u32_e64 v52, s[18:19], s22, v24
	v_addc_co_u32_e64 v53, s[18:19], v23, v25, s[18:19]
	flat_load_dword v46, v[52:53] glc
	s_waitcnt vmcnt(0)
.LBB4_32:                               ;   in Loop: Header=BB4_21 Depth=2
	s_or_b64 exec, exec, s[50:51]
	v_mov_b32_e32 v23, s25
	v_add_co_u32_e64 v26, s[18:19], s24, v26
	v_addc_co_u32_e64 v27, s[18:19], v23, v27, s[18:19]
	global_store_dwordx2 v[26:27], v[20:21], off
	v_mov_b32_e32 v21, s27
	v_add_co_u32_e64 v20, s[18:19], s26, v24
	v_addc_co_u32_e64 v21, s[18:19], v21, v25, s[18:19]
	s_waitcnt lgkmcnt(0)
	flat_store_dword v[20:21], v31
	s_waitcnt vmcnt(0)
	v_mov_b32_e32 v21, s37
	v_add_co_u32_e64 v20, s[18:19], s36, v24
	v_addc_co_u32_e64 v21, s[18:19], v21, v25, s[18:19]
	flat_store_dword v[20:21], v30
	s_waitcnt vmcnt(0)
	v_mov_b32_e32 v21, s23
	v_add_co_u32_e64 v20, s[18:19], s22, v24
	v_addc_co_u32_e64 v21, s[18:19], v21, v25, s[18:19]
	v_cmp_ge_i32_e64 s[18:19], v22, v17
	flat_store_dword v[20:21], v29
	s_waitcnt vmcnt(0)
	v_cndmask_b32_e64 v23, 0, 1, s[18:19]
	v_pk_mov_b32 v[20:21], v[10:11], v[10:11] op_sel:[0,1]
	s_waitcnt lgkmcnt(0)
	v_mov_b32_e32 v30, v44
	v_mov_b32_e32 v31, v41
	;; [unrolled: 1-line block ×3, first 2 shown]
.LBB4_33:                               ;   in Loop: Header=BB4_21 Depth=2
	s_or_b64 exec, exec, s[48:49]
	s_bcnt1_i32_b64 s18, vcc
	v_subrev_u32_e32 v4, s18, v4
	v_cmp_le_i32_e32 vcc, v17, v4
	s_and_saveexec_b64 s[48:49], vcc
	s_cbranch_execz .LBB4_20
; %bb.34:                               ;   in Loop: Header=BB4_21 Depth=2
	v_cmp_eq_u32_e32 vcc, 0, v23
	s_and_saveexec_b64 s[50:51], vcc
	s_cbranch_execz .LBB4_19
; %bb.35:                               ;   in Loop: Header=BB4_21 Depth=2
	v_and_b32_e32 v23, vcc_lo, v0
	v_and_b32_e32 v22, vcc_hi, v1
	v_bcnt_u32_b32 v23, v23, 0
	v_bcnt_u32_b32 v22, v22, v23
	v_add_u32_e32 v22, v17, v22
	v_cmp_le_i32_e64 s[18:19], v22, v4
	v_mov_b32_e32 v23, 0
	s_and_saveexec_b64 s[52:53], s[18:19]
	s_cbranch_execz .LBB4_18
; %bb.36:                               ;   in Loop: Header=BB4_21 Depth=2
	v_ashrrev_i32_e32 v23, 31, v22
	v_lshlrev_b64 v[20:21], 3, v[22:23]
	v_mov_b32_e32 v24, s25
	v_add_co_u32_e64 v20, s[18:19], s24, v20
	v_addc_co_u32_e64 v21, s[18:19], v24, v21, s[18:19]
	v_lshlrev_b64 v[22:23], 2, v[22:23]
	v_mov_b32_e32 v25, s27
	v_add_co_u32_e64 v24, s[18:19], s26, v22
	v_addc_co_u32_e64 v25, s[18:19], v25, v23, s[18:19]
	global_load_dwordx2 v[20:21], v[20:21], off
	s_waitcnt lgkmcnt(0)
	flat_load_dword v31, v[24:25] glc
	s_waitcnt vmcnt(0)
	v_mov_b32_e32 v25, s37
	v_add_co_u32_e64 v24, s[18:19], s36, v22
	v_addc_co_u32_e64 v25, s[18:19], v25, v23, s[18:19]
	flat_load_dword v30, v[24:25] glc
	s_waitcnt vmcnt(0)
	v_mov_b32_e32 v24, s23
	v_add_co_u32_e64 v22, s[18:19], s22, v22
	v_addc_co_u32_e64 v23, s[18:19], v24, v23, s[18:19]
	flat_load_dword v29, v[22:23] glc
	s_waitcnt vmcnt(0)
	v_mov_b32_e32 v23, 1
	s_branch .LBB4_18
.LBB4_37:                               ;   in Loop: Header=BB4_3 Depth=1
                                        ; implicit-def: $vgpr4
                                        ; implicit-def: $vgpr22_vgpr23
                                        ; implicit-def: $vgpr20_vgpr21
.LBB4_38:                               ;   in Loop: Header=BB4_3 Depth=1
	s_andn2_saveexec_b64 s[46:47], s[46:47]
	s_cbranch_execz .LBB4_46
; %bb.39:                               ;   in Loop: Header=BB4_3 Depth=1
	v_cmp_lt_i32_e32 vcc, v32, v4
	v_mov_b32_e32 v17, 0
	s_and_saveexec_b64 s[18:19], vcc
	s_cbranch_execz .LBB4_43
; %bb.40:                               ;   in Loop: Header=BB4_3 Depth=1
	v_mov_b32_e32 v7, s25
	v_add_co_u32_e32 v6, vcc, s24, v20
	v_addc_co_u32_e32 v7, vcc, v7, v21, vcc
	v_mov_b32_e32 v17, s27
	v_add_co_u32_e32 v20, vcc, s26, v22
	v_addc_co_u32_e32 v21, vcc, v17, v23, vcc
	global_load_dwordx2 v[6:7], v[6:7], off
	v_mov_b32_e32 v17, s37
	flat_load_dword v42, v[20:21] glc
	s_waitcnt vmcnt(0)
	v_add_co_u32_e32 v20, vcc, s36, v22
	v_addc_co_u32_e32 v21, vcc, v17, v23, vcc
	v_mov_b32_e32 v17, s23
	flat_load_dword v47, v[20:21] glc
	s_waitcnt vmcnt(0)
	v_addc_co_u32_e64 v21, vcc, v17, v23, s[16:17]
	v_mov_b32_e32 v20, v18
	flat_load_dword v49, v[20:21] glc
	s_waitcnt vmcnt(0)
	s_mov_b64 s[48:49], 0
	s_waitcnt lgkmcnt(0)
	v_ashrrev_i32_e32 v20, 1, v49
	v_cmp_ne_u32_e32 vcc, v20, v50
	s_and_saveexec_b64 s[16:17], vcc
	s_cbranch_execz .LBB4_42
; %bb.41:                               ;   in Loop: Header=BB4_3 Depth=1
	v_ashrrev_i32_e32 v21, 31, v20
	v_lshlrev_b64 v[20:21], 2, v[20:21]
	v_mov_b32_e32 v17, s39
	v_add_co_u32_e32 v20, vcc, s38, v20
	v_addc_co_u32_e32 v21, vcc, v17, v21, vcc
	global_load_dword v17, v[20:21], off
	s_waitcnt vmcnt(0)
	v_ashrrev_i32_e32 v17, 2, v17
	v_cmp_eq_u32_e32 vcc, v17, v14
	s_and_b64 s[48:49], vcc, exec
.LBB4_42:                               ;   in Loop: Header=BB4_3 Depth=1
	s_or_b64 exec, exec, s[16:17]
	v_cndmask_b32_e64 v17, 3, 2, s[48:49]
.LBB4_43:                               ;   in Loop: Header=BB4_3 Depth=1
	s_or_b64 exec, exec, s[18:19]
	v_cmp_eq_u32_e64 s[16:17], 2, v17
	v_cmp_eq_u32_e32 vcc, 3, v17
	v_cmp_ne_u32_e64 s[18:19], 0, v17
	s_and_saveexec_b64 s[48:49], s[18:19]
	s_cbranch_execz .LBB4_45
; %bb.44:                               ;   in Loop: Header=BB4_3 Depth=1
	v_and_b32_e32 v20, vcc_lo, v0
	v_and_b32_e32 v17, vcc_hi, v1
	v_bcnt_u32_b32 v20, v20, 0
	v_bcnt_u32_b32 v17, v17, v20
	v_and_b32_e32 v20, s16, v0
	v_xad_u32 v4, v17, -1, v4
	v_and_b32_e32 v17, s17, v1
	v_bcnt_u32_b32 v20, v20, 0
	v_bcnt_u32_b32 v17, v17, v20
	v_cndmask_b32_e32 v4, v17, v4, vcc
	v_add_u32_e32 v20, v4, v12
	v_ashrrev_i32_e32 v21, 31, v20
	v_lshlrev_b64 v[22:23], 3, v[20:21]
	v_mov_b32_e32 v4, s25
	v_add_co_u32_e32 v22, vcc, s24, v22
	v_addc_co_u32_e32 v23, vcc, v4, v23, vcc
	v_lshlrev_b64 v[20:21], 2, v[20:21]
	global_store_dwordx2 v[22:23], v[6:7], off
	v_mov_b32_e32 v4, s27
	v_add_co_u32_e32 v22, vcc, s26, v20
	v_addc_co_u32_e32 v23, vcc, v4, v21, vcc
	flat_store_dword v[22:23], v42
	s_waitcnt vmcnt(0)
	v_mov_b32_e32 v4, s37
	v_add_co_u32_e32 v22, vcc, s36, v20
	v_addc_co_u32_e32 v23, vcc, v4, v21, vcc
	v_mov_b32_e32 v4, s23
	v_add_co_u32_e32 v20, vcc, s22, v20
	v_addc_co_u32_e32 v21, vcc, v4, v21, vcc
	flat_store_dword v[22:23], v47
	s_waitcnt vmcnt(0)
	flat_store_dword v[20:21], v49
	s_waitcnt vmcnt(0)
.LBB4_45:                               ;   in Loop: Header=BB4_3 Depth=1
	s_or_b64 exec, exec, s[48:49]
.LBB4_46:                               ;   in Loop: Header=BB4_3 Depth=1
	s_or_b64 exec, exec, s[46:47]
.LBB4_47:                               ;   in Loop: Header=BB4_3 Depth=1
	s_or_b64 exec, exec, s[44:45]
	v_mov_b32_e32 v4, -1
	v_pk_mov_b32 v[20:21], v[18:19], v[18:19] op_sel:[0,1]
	v_mov_b32_e32 v17, v16
	s_branch .LBB4_49
.LBB4_48:                               ;   in Loop: Header=BB4_49 Depth=2
	s_or_b64 exec, exec, s[18:19]
	v_not_b32_e32 v22, v4
	v_lshrrev_b32_e32 v22, 31, v22
	;;#ASMSTART
	;;#ASMEND
	v_cmp_ne_u32_e32 vcc, 0, v22
	s_cmp_lg_u64 vcc, 0
	v_add_co_u32_e32 v20, vcc, 0x100, v20
	s_cselect_b64 s[16:17], -1, 0
	v_add_u32_e32 v17, 64, v17
	v_addc_co_u32_e32 v21, vcc, 0, v21, vcc
	s_and_b64 vcc, exec, s[16:17]
	s_cbranch_vccnz .LBB4_53
.LBB4_49:                               ;   Parent Loop BB4_3 Depth=1
                                        ; =>  This Inner Loop Header: Depth=2
	v_cmp_lt_i32_e64 s[16:17], v17, v13
	v_cndmask_b32_e64 v22, 0, 1, s[16:17]
	;;#ASMSTART
	;;#ASMEND
	v_cmp_ne_u32_e32 vcc, 0, v22
	s_cbranch_vccz .LBB4_52
; %bb.50:                               ;   in Loop: Header=BB4_49 Depth=2
	s_and_saveexec_b64 s[18:19], s[16:17]
	s_cbranch_execz .LBB4_48
; %bb.51:                               ;   in Loop: Header=BB4_49 Depth=2
	flat_load_dword v22, v[20:21] glc
	s_waitcnt vmcnt(0) lgkmcnt(0)
	v_ashrrev_i32_e32 v22, 1, v22
	v_cmp_eq_u32_e32 vcc, v22, v50
	v_cndmask_b32_e32 v4, v4, v17, vcc
	s_branch .LBB4_48
.LBB4_52:                               ;   in Loop: Header=BB4_49 Depth=2
                                        ; implicit-def: $vgpr17
                                        ; implicit-def: $vgpr20_vgpr21
	s_cbranch_execz .LBB4_49
.LBB4_53:                               ;   in Loop: Header=BB4_3 Depth=1
	v_mov_b32_e32 v17, -1
	s_branch .LBB4_55
.LBB4_54:                               ;   in Loop: Header=BB4_55 Depth=2
	s_or_b64 exec, exec, s[18:19]
	v_not_b32_e32 v20, v17
	v_lshrrev_b32_e32 v20, 31, v20
	;;#ASMSTART
	;;#ASMEND
	v_cmp_ne_u32_e32 vcc, 0, v20
	s_cmp_lg_u64 vcc, 0
	v_add_co_u32_e32 v18, vcc, 0x100, v18
	s_cselect_b64 s[16:17], -1, 0
	v_add_u32_e32 v16, 64, v16
	v_addc_co_u32_e32 v19, vcc, 0, v19, vcc
	s_and_b64 vcc, exec, s[16:17]
	s_cbranch_vccnz .LBB4_59
.LBB4_55:                               ;   Parent Loop BB4_3 Depth=1
                                        ; =>  This Inner Loop Header: Depth=2
	v_cmp_lt_i32_e64 s[16:17], v16, v13
	v_cndmask_b32_e64 v20, 0, 1, s[16:17]
	;;#ASMSTART
	;;#ASMEND
	v_cmp_ne_u32_e32 vcc, 0, v20
	s_cbranch_vccz .LBB4_58
; %bb.56:                               ;   in Loop: Header=BB4_55 Depth=2
	s_and_saveexec_b64 s[18:19], s[16:17]
	s_cbranch_execz .LBB4_54
; %bb.57:                               ;   in Loop: Header=BB4_55 Depth=2
	flat_load_dword v20, v[18:19] glc
	s_waitcnt vmcnt(0)
	v_mov_b32_e32 v22, s39
	s_waitcnt lgkmcnt(0)
	v_ashrrev_i32_e32 v20, 1, v20
	v_ashrrev_i32_e32 v21, 31, v20
	v_lshlrev_b64 v[20:21], 2, v[20:21]
	v_add_co_u32_e32 v20, vcc, s38, v20
	v_addc_co_u32_e32 v21, vcc, v22, v21, vcc
	global_load_dword v20, v[20:21], off
	s_waitcnt vmcnt(0)
	v_ashrrev_i32_e32 v20, 2, v20
	v_cmp_eq_u32_e32 vcc, v20, v14
	v_cndmask_b32_e32 v17, v16, v17, vcc
	s_branch .LBB4_54
.LBB4_58:                               ;   in Loop: Header=BB4_55 Depth=2
                                        ; implicit-def: $vgpr16
                                        ; implicit-def: $vgpr18_vgpr19
	s_cbranch_execz .LBB4_55
.LBB4_59:                               ;   in Loop: Header=BB4_3 Depth=1
	v_cmp_lt_i32_e32 vcc, -1, v17
	s_ff1_i32_b64 s16, vcc
	s_cmp_lg_u64 vcc, 0
	s_cselect_b32 s16, s16, 63
	v_and_or_b32 v13, v39, 64, s16
	v_lshlrev_b32_e32 v13, 2, v13
	ds_bpermute_b32 v14, v13, v17
	v_cmp_lt_i32_e32 vcc, -1, v4
	s_and_saveexec_b64 s[16:17], vcc
	s_cbranch_execz .LBB4_2
; %bb.60:                               ;   in Loop: Header=BB4_3 Depth=1
	v_lshlrev_b64 v[16:17], 3, v[4:5]
	v_mov_b32_e32 v13, s25
	v_add_co_u32_e32 v18, vcc, s24, v16
	v_addc_co_u32_e32 v19, vcc, v13, v17, vcc
	global_load_dword v13, v[18:19], off offset:4
	v_lshlrev_b64 v[16:17], 2, v[4:5]
	v_or_b32_e32 v20, 1, v3
	v_mov_b32_e32 v3, s23
	v_add_co_u32_e32 v22, vcc, s22, v16
	v_addc_co_u32_e32 v23, vcc, v3, v17, vcc
	v_cmp_ne_u32_e32 vcc, v4, v12
	s_waitcnt vmcnt(0)
	v_and_b32_e32 v3, 1, v13
	v_lshl_or_b32 v3, v15, 1, v3
	v_add_u32_e32 v21, -2, v3
	global_store_dwordx2 v[18:19], v[20:21], off
	flat_load_dword v3, v[22:23] glc
	s_waitcnt vmcnt(0) lgkmcnt(0)
	v_or_b32_e32 v3, 1, v3
	flat_store_dword v[22:23], v3
	s_waitcnt vmcnt(0)
	s_and_b64 exec, exec, vcc
	s_cbranch_execz .LBB4_2
; %bb.61:                               ;   in Loop: Header=BB4_3 Depth=1
	v_cmp_ne_u32_e32 vcc, v4, v14
	s_and_saveexec_b64 s[18:19], vcc
	s_cbranch_execz .LBB4_63
; %bb.62:                               ;   in Loop: Header=BB4_3 Depth=1
	v_ashrrev_i32_e32 v15, 31, v14
	v_lshlrev_b64 v[24:25], 2, v[14:15]
	v_mov_b32_e32 v3, s23
	v_add_co_u32_e32 v26, vcc, s22, v24
	v_addc_co_u32_e32 v27, vcc, v3, v25, vcc
	flat_load_dword v3, v[26:27] glc
	s_waitcnt vmcnt(0)
	v_pk_mov_b32 v[28:29], s[30:31], s[30:31] op_sel:[0,1]
	v_mov_b32_e32 v4, s25
	s_waitcnt lgkmcnt(0)
	flat_store_dword v[28:29], v3
	s_waitcnt vmcnt(0)
	flat_load_dword v3, v[22:23] glc
	s_waitcnt vmcnt(0) lgkmcnt(0)
	flat_store_dword v[26:27], v3
	s_waitcnt vmcnt(0)
	flat_load_dword v3, v[28:29] glc
	s_waitcnt vmcnt(0)
	v_lshlrev_b64 v[26:27], 3, v[14:15]
	v_add_co_u32_e32 v26, vcc, s24, v26
	v_addc_co_u32_e32 v27, vcc, v4, v27, vcc
	v_add_co_u32_e32 v30, vcc, s26, v24
	s_waitcnt lgkmcnt(0)
	flat_store_dword v[22:23], v3
	s_waitcnt vmcnt(0)
	global_load_dwordx2 v[22:23], v[26:27], off
	v_mov_b32_e32 v3, s27
	v_addc_co_u32_e32 v31, vcc, v3, v25, vcc
	global_store_dwordx2 v[26:27], v[20:21], off
	s_waitcnt vmcnt(0)
	global_store_dwordx2 v[18:19], v[22:23], off
	flat_load_dword v4, v[30:31] glc
	s_waitcnt vmcnt(0)
	v_add_co_u32_e32 v18, vcc, s26, v16
	v_addc_co_u32_e32 v19, vcc, v3, v17, vcc
	v_add_co_u32_e32 v20, vcc, s36, v24
	s_waitcnt lgkmcnt(0)
	flat_store_dword v[28:29], v4
	s_waitcnt vmcnt(0)
	flat_load_dword v3, v[18:19] glc
	s_waitcnt vmcnt(0)
	v_mov_b32_e32 v4, s37
	v_addc_co_u32_e32 v21, vcc, v4, v25, vcc
	v_add_co_u32_e32 v16, vcc, s36, v16
	v_addc_co_u32_e32 v17, vcc, v4, v17, vcc
	v_mov_b32_e32 v4, v14
	s_waitcnt lgkmcnt(0)
	flat_store_dword v[30:31], v3
	s_waitcnt vmcnt(0)
	flat_load_dword v3, v[28:29] glc
	s_waitcnt vmcnt(0) lgkmcnt(0)
	flat_store_dword v[18:19], v3
	s_waitcnt vmcnt(0)
	flat_load_dword v3, v[20:21] glc
	s_waitcnt vmcnt(0) lgkmcnt(0)
	;; [unrolled: 4-line block ×4, first 2 shown]
	flat_store_dword v[16:17], v3
	s_waitcnt vmcnt(0)
.LBB4_63:                               ;   in Loop: Header=BB4_3 Depth=1
	s_or_b64 exec, exec, s[18:19]
	v_cmp_ne_u32_e32 vcc, v4, v12
	s_and_b64 exec, exec, vcc
	s_cbranch_execz .LBB4_2
; %bb.64:                               ;   in Loop: Header=BB4_3 Depth=1
	v_ashrrev_i32_e32 v13, 31, v12
	v_lshlrev_b64 v[14:15], 2, v[12:13]
	v_mov_b32_e32 v3, s23
	v_add_co_u32_e32 v16, vcc, s22, v14
	v_addc_co_u32_e32 v17, vcc, v3, v15, vcc
	flat_load_dword v26, v[16:17] glc
	s_waitcnt vmcnt(0)
	v_ashrrev_i32_e32 v19, 31, v4
	v_mov_b32_e32 v18, v4
	v_lshlrev_b64 v[22:23], 2, v[18:19]
	v_pk_mov_b32 v[20:21], s[30:31], s[30:31] op_sel:[0,1]
	v_add_co_u32_e32 v24, vcc, s22, v22
	v_addc_co_u32_e32 v25, vcc, v3, v23, vcc
	v_lshlrev_b64 v[12:13], 3, v[12:13]
	v_mov_b32_e32 v4, s25
	v_add_co_u32_e32 v12, vcc, s24, v12
	v_addc_co_u32_e32 v13, vcc, v4, v13, vcc
	s_waitcnt lgkmcnt(0)
	flat_store_dword v[20:21], v26
	s_waitcnt vmcnt(0)
	flat_load_dword v3, v[24:25] glc
	s_waitcnt vmcnt(0) lgkmcnt(0)
	flat_store_dword v[16:17], v3
	s_waitcnt vmcnt(0)
	flat_load_dword v3, v[20:21] glc
	s_waitcnt vmcnt(0)
	v_lshlrev_b64 v[16:17], 3, v[18:19]
	v_add_co_u32_e32 v16, vcc, s24, v16
	v_addc_co_u32_e32 v17, vcc, v4, v17, vcc
	v_add_co_u32_e32 v26, vcc, s26, v14
	s_waitcnt lgkmcnt(0)
	flat_store_dword v[24:25], v3
	s_waitcnt vmcnt(0)
	global_load_dwordx2 v[18:19], v[16:17], off
	global_load_dwordx2 v[24:25], v[12:13], off
	v_mov_b32_e32 v3, s27
	v_addc_co_u32_e32 v27, vcc, v3, v15, vcc
	s_waitcnt vmcnt(0)
	global_store_dwordx2 v[12:13], v[18:19], off
	global_store_dwordx2 v[16:17], v[24:25], off
	flat_load_dword v4, v[26:27] glc
	s_waitcnt vmcnt(0)
	v_add_co_u32_e32 v12, vcc, s26, v22
	v_addc_co_u32_e32 v13, vcc, v3, v23, vcc
	s_waitcnt lgkmcnt(0)
	flat_store_dword v[20:21], v4
	s_waitcnt vmcnt(0)
	flat_load_dword v3, v[12:13] glc
	s_waitcnt vmcnt(0)
	v_mov_b32_e32 v4, s37
	s_waitcnt lgkmcnt(0)
	flat_store_dword v[26:27], v3
	s_waitcnt vmcnt(0)
	flat_load_dword v3, v[20:21] glc
	s_waitcnt vmcnt(0) lgkmcnt(0)
	flat_store_dword v[12:13], v3
	s_waitcnt vmcnt(0)
	v_add_co_u32_e32 v12, vcc, s36, v14
	v_addc_co_u32_e32 v13, vcc, v4, v15, vcc
	flat_load_dword v3, v[12:13] glc
	s_waitcnt vmcnt(0)
	v_add_co_u32_e32 v14, vcc, s36, v22
	v_addc_co_u32_e32 v15, vcc, v4, v23, vcc
	s_waitcnt lgkmcnt(0)
	flat_store_dword v[20:21], v3
	s_waitcnt vmcnt(0)
	flat_load_dword v3, v[14:15] glc
	s_waitcnt vmcnt(0) lgkmcnt(0)
	flat_store_dword v[12:13], v3
	s_waitcnt vmcnt(0)
	flat_load_dword v3, v[20:21] glc
	s_waitcnt vmcnt(0) lgkmcnt(0)
	flat_store_dword v[14:15], v3
	s_waitcnt vmcnt(0)
	s_branch .LBB4_2
.LBB4_65:
	s_endpgm
	.section	.rodata,"a",@progbits
	.p2align	6, 0x0
	.amdhsa_kernel _ZL9treelabeliPKiPViP8EdgeInfoS2_S2_S0_S0_Piiii
		.amdhsa_group_segment_fixed_size 0
		.amdhsa_private_segment_fixed_size 8
		.amdhsa_kernarg_size 344
		.amdhsa_user_sgpr_count 8
		.amdhsa_user_sgpr_private_segment_buffer 1
		.amdhsa_user_sgpr_dispatch_ptr 0
		.amdhsa_user_sgpr_queue_ptr 0
		.amdhsa_user_sgpr_kernarg_segment_ptr 1
		.amdhsa_user_sgpr_dispatch_id 0
		.amdhsa_user_sgpr_flat_scratch_init 1
		.amdhsa_user_sgpr_kernarg_preload_length 0
		.amdhsa_user_sgpr_kernarg_preload_offset 0
		.amdhsa_user_sgpr_private_segment_size 0
		.amdhsa_uses_dynamic_stack 0
		.amdhsa_system_sgpr_private_segment_wavefront_offset 1
		.amdhsa_system_sgpr_workgroup_id_x 1
		.amdhsa_system_sgpr_workgroup_id_y 0
		.amdhsa_system_sgpr_workgroup_id_z 0
		.amdhsa_system_sgpr_workgroup_info 0
		.amdhsa_system_vgpr_workitem_id 0
		.amdhsa_next_free_vgpr 54
		.amdhsa_next_free_sgpr 54
		.amdhsa_accum_offset 56
		.amdhsa_reserve_vcc 1
		.amdhsa_reserve_flat_scratch 1
		.amdhsa_float_round_mode_32 0
		.amdhsa_float_round_mode_16_64 0
		.amdhsa_float_denorm_mode_32 3
		.amdhsa_float_denorm_mode_16_64 3
		.amdhsa_dx10_clamp 1
		.amdhsa_ieee_mode 1
		.amdhsa_fp16_overflow 0
		.amdhsa_tg_split 0
		.amdhsa_exception_fp_ieee_invalid_op 0
		.amdhsa_exception_fp_denorm_src 0
		.amdhsa_exception_fp_ieee_div_zero 0
		.amdhsa_exception_fp_ieee_overflow 0
		.amdhsa_exception_fp_ieee_underflow 0
		.amdhsa_exception_fp_ieee_inexact 0
		.amdhsa_exception_int_div_zero 0
	.end_amdhsa_kernel
	.section	.text._ZL9treelabeliPKiPViP8EdgeInfoS2_S2_S0_S0_Piiii,"axG",@progbits,_ZL9treelabeliPKiPViP8EdgeInfoS2_S2_S0_S0_Piiii,comdat
.Lfunc_end4:
	.size	_ZL9treelabeliPKiPViP8EdgeInfoS2_S2_S0_S0_Piiii, .Lfunc_end4-_ZL9treelabeliPKiPViP8EdgeInfoS2_S2_S0_S0_Piiii
                                        ; -- End function
	.section	.AMDGPU.csdata,"",@progbits
; Kernel info:
; codeLenInByte = 4036
; NumSgprs: 60
; NumVgprs: 54
; NumAgprs: 0
; TotalNumVgprs: 54
; ScratchSize: 8
; MemoryBound: 0
; FloatMode: 240
; IeeeMode: 1
; LDSByteSize: 0 bytes/workgroup (compile time only)
; SGPRBlocks: 7
; VGPRBlocks: 6
; NumSGPRsForWavesPerEU: 60
; NumVGPRsForWavesPerEU: 54
; AccumOffset: 56
; Occupancy: 8
; WaveLimiterHint : 1
; COMPUTE_PGM_RSRC2:SCRATCH_EN: 1
; COMPUTE_PGM_RSRC2:USER_SGPR: 8
; COMPUTE_PGM_RSRC2:TRAP_HANDLER: 0
; COMPUTE_PGM_RSRC2:TGID_X_EN: 1
; COMPUTE_PGM_RSRC2:TGID_Y_EN: 0
; COMPUTE_PGM_RSRC2:TGID_Z_EN: 0
; COMPUTE_PGM_RSRC2:TIDIG_COMP_CNT: 0
; COMPUTE_PGM_RSRC3_GFX90A:ACCUM_OFFSET: 13
; COMPUTE_PGM_RSRC3_GFX90A:TG_SPLIT: 0
	.section	.text._ZL12inTreeUpdateiPKiPVi,"axG",@progbits,_ZL12inTreeUpdateiPKiPVi,comdat
	.globl	_ZL12inTreeUpdateiPKiPVi        ; -- Begin function _ZL12inTreeUpdateiPKiPVi
	.p2align	8
	.type	_ZL12inTreeUpdateiPKiPVi,@function
_ZL12inTreeUpdateiPKiPVi:               ; @_ZL12inTreeUpdateiPKiPVi
; %bb.0:
	s_load_dword s10, s[4:5], 0x0
	v_lshl_add_u32 v0, s6, 8, v0
	s_waitcnt lgkmcnt(0)
	v_cmp_gt_i32_e32 vcc, s10, v0
	s_and_saveexec_b64 s[0:1], vcc
	s_cbranch_execz .LBB5_3
; %bb.1:
	s_load_dword s6, s[4:5], 0x18
	s_load_dwordx4 s[0:3], s[4:5], 0x8
	v_ashrrev_i32_e32 v1, 31, v0
	s_mov_b64 s[4:5], 0
	v_lshlrev_b64 v[2:3], 2, v[0:1]
	s_waitcnt lgkmcnt(0)
	s_lshl_b32 s6, s6, 8
	s_ashr_i32 s7, s6, 31
	s_lshl_b64 s[8:9], s[6:7], 2
	v_mov_b32_e32 v1, s1
	v_mov_b32_e32 v4, s3
	;; [unrolled: 1-line block ×3, first 2 shown]
.LBB5_2:                                ; =>This Inner Loop Header: Depth=1
	v_add_co_u32_e32 v6, vcc, s0, v2
	v_addc_co_u32_e32 v7, vcc, v1, v3, vcc
	v_add_co_u32_e32 v8, vcc, s2, v2
	v_addc_co_u32_e32 v9, vcc, v4, v3, vcc
	global_load_dword v10, v[6:7], off
	flat_load_dword v11, v[8:9] glc
	s_waitcnt vmcnt(0)
	v_add_co_u32_e32 v2, vcc, s8, v2
	v_add_u32_e32 v0, s6, v0
	v_addc_co_u32_e32 v3, vcc, v3, v5, vcc
	v_cmp_le_i32_e32 vcc, s10, v0
	s_or_b64 s[4:5], vcc, s[4:5]
	v_and_b32_e32 v6, 1, v10
	s_waitcnt lgkmcnt(0)
	v_add_u32_e32 v6, v11, v6
	flat_store_dword v[8:9], v6
	s_waitcnt vmcnt(0)
	s_andn2_b64 exec, exec, s[4:5]
	s_cbranch_execnz .LBB5_2
.LBB5_3:
	s_endpgm
	.section	.rodata,"a",@progbits
	.p2align	6, 0x0
	.amdhsa_kernel _ZL12inTreeUpdateiPKiPVi
		.amdhsa_group_segment_fixed_size 0
		.amdhsa_private_segment_fixed_size 0
		.amdhsa_kernarg_size 280
		.amdhsa_user_sgpr_count 6
		.amdhsa_user_sgpr_private_segment_buffer 1
		.amdhsa_user_sgpr_dispatch_ptr 0
		.amdhsa_user_sgpr_queue_ptr 0
		.amdhsa_user_sgpr_kernarg_segment_ptr 1
		.amdhsa_user_sgpr_dispatch_id 0
		.amdhsa_user_sgpr_flat_scratch_init 0
		.amdhsa_user_sgpr_kernarg_preload_length 0
		.amdhsa_user_sgpr_kernarg_preload_offset 0
		.amdhsa_user_sgpr_private_segment_size 0
		.amdhsa_uses_dynamic_stack 0
		.amdhsa_system_sgpr_private_segment_wavefront_offset 0
		.amdhsa_system_sgpr_workgroup_id_x 1
		.amdhsa_system_sgpr_workgroup_id_y 0
		.amdhsa_system_sgpr_workgroup_id_z 0
		.amdhsa_system_sgpr_workgroup_info 0
		.amdhsa_system_vgpr_workitem_id 0
		.amdhsa_next_free_vgpr 12
		.amdhsa_next_free_sgpr 11
		.amdhsa_accum_offset 12
		.amdhsa_reserve_vcc 1
		.amdhsa_reserve_flat_scratch 0
		.amdhsa_float_round_mode_32 0
		.amdhsa_float_round_mode_16_64 0
		.amdhsa_float_denorm_mode_32 3
		.amdhsa_float_denorm_mode_16_64 3
		.amdhsa_dx10_clamp 1
		.amdhsa_ieee_mode 1
		.amdhsa_fp16_overflow 0
		.amdhsa_tg_split 0
		.amdhsa_exception_fp_ieee_invalid_op 0
		.amdhsa_exception_fp_denorm_src 0
		.amdhsa_exception_fp_ieee_div_zero 0
		.amdhsa_exception_fp_ieee_overflow 0
		.amdhsa_exception_fp_ieee_underflow 0
		.amdhsa_exception_fp_ieee_inexact 0
		.amdhsa_exception_int_div_zero 0
	.end_amdhsa_kernel
	.section	.text._ZL12inTreeUpdateiPKiPVi,"axG",@progbits,_ZL12inTreeUpdateiPKiPVi,comdat
.Lfunc_end5:
	.size	_ZL12inTreeUpdateiPKiPVi, .Lfunc_end5-_ZL12inTreeUpdateiPKiPVi
                                        ; -- End function
	.section	.AMDGPU.csdata,"",@progbits
; Kernel info:
; codeLenInByte = 184
; NumSgprs: 15
; NumVgprs: 12
; NumAgprs: 0
; TotalNumVgprs: 12
; ScratchSize: 0
; MemoryBound: 0
; FloatMode: 240
; IeeeMode: 1
; LDSByteSize: 0 bytes/workgroup (compile time only)
; SGPRBlocks: 1
; VGPRBlocks: 1
; NumSGPRsForWavesPerEU: 15
; NumVGPRsForWavesPerEU: 12
; AccumOffset: 12
; Occupancy: 8
; WaveLimiterHint : 0
; COMPUTE_PGM_RSRC2:SCRATCH_EN: 0
; COMPUTE_PGM_RSRC2:USER_SGPR: 6
; COMPUTE_PGM_RSRC2:TRAP_HANDLER: 0
; COMPUTE_PGM_RSRC2:TGID_X_EN: 1
; COMPUTE_PGM_RSRC2:TGID_Y_EN: 0
; COMPUTE_PGM_RSRC2:TGID_Z_EN: 0
; COMPUTE_PGM_RSRC2:TIDIG_COMP_CNT: 0
; COMPUTE_PGM_RSRC3_GFX90A:ACCUM_OFFSET: 2
; COMPUTE_PGM_RSRC3_GFX90A:TG_SPLIT: 0
	.section	.text._ZL13processCyclesiPKiS0_S0_PK8EdgeInfoPb,"axG",@progbits,_ZL13processCyclesiPKiS0_S0_PK8EdgeInfoPb,comdat
	.globl	_ZL13processCyclesiPKiS0_S0_PK8EdgeInfoPb ; -- Begin function _ZL13processCyclesiPKiS0_S0_PK8EdgeInfoPb
	.p2align	8
	.type	_ZL13processCyclesiPKiS0_S0_PK8EdgeInfoPb,@function
_ZL13processCyclesiPKiS0_S0_PK8EdgeInfoPb: ; @_ZL13processCyclesiPKiS0_S0_PK8EdgeInfoPb
; %bb.0:
	s_load_dword s30, s[4:5], 0x0
	v_lshl_add_u32 v1, s6, 8, v0
	v_lshrrev_b32_e32 v2, 6, v1
	s_waitcnt lgkmcnt(0)
	v_cmp_gt_i32_e32 vcc, s30, v2
	s_and_saveexec_b64 s[0:1], vcc
	s_cbranch_execz .LBB6_18
; %bb.1:
	s_load_dword s2, s[4:5], 0x30
	s_load_dwordx2 s[0:1], s[4:5], 0x28
	s_load_dwordx8 s[8:15], s[4:5], 0x8
	v_not_b32_e32 v0, v0
	v_or_b32_e32 v10, 0xffffffc0, v0
	s_waitcnt lgkmcnt(0)
	s_lshl_b32 s2, s2, 2
	s_and_b32 s31, s2, 0x3fffffc
	s_add_u32 s33, s14, 4
	s_addc_u32 s34, s15, 0
	s_mov_b64 s[2:3], 0
	v_mov_b32_e32 v3, 0
	v_mov_b32_e32 v11, s9
	s_branch .LBB6_3
.LBB6_2:                                ;   in Loop: Header=BB6_3 Depth=1
	s_or_b64 exec, exec, s[4:5]
	v_add_u32_e32 v2, s31, v2
	v_cmp_le_i32_e32 vcc, s30, v2
	s_or_b64 s[2:3], vcc, s[2:3]
	s_andn2_b64 exec, exec, s[2:3]
	s_cbranch_execz .LBB6_18
.LBB6_3:                                ; =>This Loop Header: Depth=1
                                        ;     Child Loop BB6_9 Depth 2
                                        ;       Child Loop BB6_14 Depth 3
                                        ;         Child Loop BB6_16 Depth 4
	v_lshlrev_b64 v[6:7], 2, v[2:3]
	v_add_co_u32_e32 v0, vcc, s8, v6
	v_addc_co_u32_e32 v1, vcc, v11, v7, vcc
	global_load_dwordx2 v[0:1], v[0:1], off
	s_waitcnt vmcnt(0)
	v_add_u32_e32 v4, v1, v10
	v_cmp_ge_i32_e32 vcc, v4, v0
	s_and_saveexec_b64 s[4:5], vcc
	s_cbranch_execz .LBB6_2
; %bb.4:                                ;   in Loop: Header=BB6_3 Depth=1
	v_mov_b32_e32 v1, s13
	v_add_co_u32_e32 v6, vcc, s12, v6
	v_addc_co_u32_e32 v7, vcc, v1, v7, vcc
	global_load_dword v1, v[6:7], off
	s_mov_b64 s[6:7], 0
                                        ; implicit-def: $sgpr14_sgpr15
	s_waitcnt vmcnt(0)
	v_or_b32_e32 v12, 1, v1
	s_branch .LBB6_9
.LBB6_5:                                ;   in Loop: Header=BB6_9 Depth=2
	s_or_b64 exec, exec, s[22:23]
.LBB6_6:                                ;   in Loop: Header=BB6_9 Depth=2
	s_or_b64 exec, exec, s[20:21]
	v_mov_b32_e32 v7, s1
	v_add_co_u32_e32 v6, vcc, s0, v4
	v_addc_co_u32_e32 v7, vcc, v7, v5, vcc
	v_and_b32_e32 v5, 1, v13
	global_store_byte v[6:7], v5, off
.LBB6_7:                                ;   in Loop: Header=BB6_9 Depth=2
	s_or_b64 exec, exec, s[18:19]
	v_subrev_u32_e32 v4, 64, v4
	v_cmp_lt_i32_e32 vcc, v4, v0
	s_andn2_b64 s[14:15], s[14:15], exec
	s_and_b64 s[18:19], vcc, exec
	s_or_b64 s[14:15], s[14:15], s[18:19]
.LBB6_8:                                ;   in Loop: Header=BB6_9 Depth=2
	s_or_b64 exec, exec, s[16:17]
	s_and_b64 s[16:17], exec, s[14:15]
	s_or_b64 s[6:7], s[16:17], s[6:7]
	s_andn2_b64 exec, exec, s[6:7]
	s_cbranch_execz .LBB6_2
.LBB6_9:                                ;   Parent Loop BB6_3 Depth=1
                                        ; =>  This Loop Header: Depth=2
                                        ;       Child Loop BB6_14 Depth 3
                                        ;         Child Loop BB6_16 Depth 4
	v_ashrrev_i32_e32 v5, 31, v4
	v_lshlrev_b64 v[6:7], 2, v[4:5]
	v_mov_b32_e32 v8, s11
	v_add_co_u32_e32 v6, vcc, s10, v6
	v_addc_co_u32_e32 v7, vcc, v8, v7, vcc
	global_load_dword v6, v[6:7], off
	s_or_b64 s[14:15], s[14:15], exec
	s_waitcnt vmcnt(0)
	v_and_b32_e32 v7, 1, v6
	v_cmp_eq_u32_e32 vcc, 0, v7
	s_and_saveexec_b64 s[16:17], vcc
	s_cbranch_execz .LBB6_8
; %bb.10:                               ;   in Loop: Header=BB6_9 Depth=2
	v_ashrrev_i32_e32 v8, 1, v6
	v_cmp_gt_i32_e32 vcc, v8, v2
	s_and_saveexec_b64 s[18:19], vcc
	s_cbranch_execz .LBB6_7
; %bb.11:                               ;   in Loop: Header=BB6_9 Depth=2
	v_ashrrev_i32_e32 v9, 31, v8
	v_lshlrev_b64 v[6:7], 2, v[8:9]
	v_mov_b32_e32 v13, s13
	v_add_co_u32_e32 v6, vcc, s12, v6
	v_addc_co_u32_e32 v7, vcc, v13, v7, vcc
	global_load_dword v6, v[6:7], off
	v_mov_b32_e32 v13, 0
	s_waitcnt vmcnt(0)
	v_cmp_ne_u32_e32 vcc, v6, v1
	s_and_saveexec_b64 s[20:21], vcc
	s_cbranch_execz .LBB6_6
; %bb.12:                               ;   in Loop: Header=BB6_9 Depth=2
	s_mov_b64 s[22:23], 0
	v_mov_b32_e32 v13, 0
	s_branch .LBB6_14
.LBB6_13:                               ;   in Loop: Header=BB6_14 Depth=3
	s_or_b64 exec, exec, s[26:27]
	v_lshlrev_b64 v[8:9], 2, v[8:9]
	v_mov_b32_e32 v14, s11
	v_add_co_u32_e32 v8, vcc, s10, v8
	v_addc_co_u32_e32 v9, vcc, v14, v9, vcc
	global_load_dword v8, v[8:9], off
	v_mov_b32_e32 v16, s13
	s_waitcnt vmcnt(0)
	v_ashrrev_i32_e32 v8, 1, v8
	v_ashrrev_i32_e32 v9, 31, v8
	v_lshlrev_b64 v[14:15], 2, v[8:9]
	v_add_co_u32_e32 v14, vcc, s12, v14
	v_addc_co_u32_e32 v15, vcc, v16, v15, vcc
	global_load_dword v16, v[14:15], off
	global_load_dword v17, v[6:7], off offset:-8
	s_waitcnt vmcnt(1)
	v_cmp_eq_u32_e32 vcc, v16, v1
	s_or_b64 s[22:23], vcc, s[22:23]
	s_waitcnt vmcnt(0)
	v_add_u32_e32 v13, v17, v13
	s_andn2_b64 exec, exec, s[22:23]
	s_cbranch_execz .LBB6_5
.LBB6_14:                               ;   Parent Loop BB6_3 Depth=1
                                        ;     Parent Loop BB6_9 Depth=2
                                        ; =>    This Loop Header: Depth=3
                                        ;         Child Loop BB6_16 Depth 4
	v_lshlrev_b64 v[6:7], 2, v[8:9]
	v_add_co_u32_e32 v6, vcc, s8, v6
	v_addc_co_u32_e32 v7, vcc, v11, v7, vcc
	global_load_dword v6, v[6:7], off
	v_mov_b32_e32 v14, s34
	s_mov_b64 s[26:27], 0
                                        ; implicit-def: $sgpr24_sgpr25
	s_waitcnt vmcnt(0)
	v_ashrrev_i32_e32 v7, 31, v6
	v_add_co_u32_e32 v8, vcc, -1, v6
	v_addc_co_u32_e32 v9, vcc, -1, v7, vcc
	v_lshlrev_b64 v[6:7], 3, v[6:7]
	v_add_co_u32_e32 v6, vcc, s33, v6
	v_addc_co_u32_e32 v7, vcc, v14, v7, vcc
	s_branch .LBB6_16
.LBB6_15:                               ;   in Loop: Header=BB6_16 Depth=4
	s_or_b64 exec, exec, s[28:29]
	v_and_b32_e32 v14, 1, v14
	v_cmp_eq_u32_e32 vcc, 1, v14
	s_xor_b64 s[28:29], s[24:25], vcc
	v_add_co_u32_e32 v8, vcc, 1, v8
	v_addc_co_u32_e32 v9, vcc, 0, v9, vcc
	s_and_b64 s[28:29], exec, s[28:29]
	v_add_co_u32_e32 v6, vcc, 8, v6
	s_or_b64 s[26:27], s[28:29], s[26:27]
	v_addc_co_u32_e32 v7, vcc, 0, v7, vcc
	s_andn2_b64 exec, exec, s[26:27]
	s_cbranch_execz .LBB6_13
.LBB6_16:                               ;   Parent Loop BB6_3 Depth=1
                                        ;     Parent Loop BB6_9 Depth=2
                                        ;       Parent Loop BB6_14 Depth=3
                                        ; =>      This Inner Loop Header: Depth=4
	global_load_dword v14, v[6:7], off offset:-4
	s_andn2_b64 s[24:25], s[24:25], exec
	s_waitcnt vmcnt(0)
	v_cmp_le_i32_e32 vcc, v14, v12
	s_and_saveexec_b64 s[28:29], vcc
	s_cbranch_execz .LBB6_15
; %bb.17:                               ;   in Loop: Header=BB6_16 Depth=4
	global_load_dword v15, v[6:7], off
	s_andn2_b64 s[24:25], s[24:25], exec
	s_waitcnt vmcnt(0)
	v_cmp_le_i32_e32 vcc, v1, v15
	s_and_b64 s[36:37], vcc, exec
	s_or_b64 s[24:25], s[24:25], s[36:37]
	s_branch .LBB6_15
.LBB6_18:
	s_endpgm
	.section	.rodata,"a",@progbits
	.p2align	6, 0x0
	.amdhsa_kernel _ZL13processCyclesiPKiS0_S0_PK8EdgeInfoPb
		.amdhsa_group_segment_fixed_size 0
		.amdhsa_private_segment_fixed_size 0
		.amdhsa_kernarg_size 304
		.amdhsa_user_sgpr_count 6
		.amdhsa_user_sgpr_private_segment_buffer 1
		.amdhsa_user_sgpr_dispatch_ptr 0
		.amdhsa_user_sgpr_queue_ptr 0
		.amdhsa_user_sgpr_kernarg_segment_ptr 1
		.amdhsa_user_sgpr_dispatch_id 0
		.amdhsa_user_sgpr_flat_scratch_init 0
		.amdhsa_user_sgpr_kernarg_preload_length 0
		.amdhsa_user_sgpr_kernarg_preload_offset 0
		.amdhsa_user_sgpr_private_segment_size 0
		.amdhsa_uses_dynamic_stack 0
		.amdhsa_system_sgpr_private_segment_wavefront_offset 0
		.amdhsa_system_sgpr_workgroup_id_x 1
		.amdhsa_system_sgpr_workgroup_id_y 0
		.amdhsa_system_sgpr_workgroup_id_z 0
		.amdhsa_system_sgpr_workgroup_info 0
		.amdhsa_system_vgpr_workitem_id 0
		.amdhsa_next_free_vgpr 18
		.amdhsa_next_free_sgpr 38
		.amdhsa_accum_offset 20
		.amdhsa_reserve_vcc 1
		.amdhsa_reserve_flat_scratch 0
		.amdhsa_float_round_mode_32 0
		.amdhsa_float_round_mode_16_64 0
		.amdhsa_float_denorm_mode_32 3
		.amdhsa_float_denorm_mode_16_64 3
		.amdhsa_dx10_clamp 1
		.amdhsa_ieee_mode 1
		.amdhsa_fp16_overflow 0
		.amdhsa_tg_split 0
		.amdhsa_exception_fp_ieee_invalid_op 0
		.amdhsa_exception_fp_denorm_src 0
		.amdhsa_exception_fp_ieee_div_zero 0
		.amdhsa_exception_fp_ieee_overflow 0
		.amdhsa_exception_fp_ieee_underflow 0
		.amdhsa_exception_fp_ieee_inexact 0
		.amdhsa_exception_int_div_zero 0
	.end_amdhsa_kernel
	.section	.text._ZL13processCyclesiPKiS0_S0_PK8EdgeInfoPb,"axG",@progbits,_ZL13processCyclesiPKiS0_S0_PK8EdgeInfoPb,comdat
.Lfunc_end6:
	.size	_ZL13processCyclesiPKiS0_S0_PK8EdgeInfoPb, .Lfunc_end6-_ZL13processCyclesiPKiS0_S0_PK8EdgeInfoPb
                                        ; -- End function
	.section	.AMDGPU.csdata,"",@progbits
; Kernel info:
; codeLenInByte = 716
; NumSgprs: 42
; NumVgprs: 18
; NumAgprs: 0
; TotalNumVgprs: 18
; ScratchSize: 0
; MemoryBound: 0
; FloatMode: 240
; IeeeMode: 1
; LDSByteSize: 0 bytes/workgroup (compile time only)
; SGPRBlocks: 5
; VGPRBlocks: 2
; NumSGPRsForWavesPerEU: 42
; NumVGPRsForWavesPerEU: 18
; AccumOffset: 20
; Occupancy: 8
; WaveLimiterHint : 1
; COMPUTE_PGM_RSRC2:SCRATCH_EN: 0
; COMPUTE_PGM_RSRC2:USER_SGPR: 6
; COMPUTE_PGM_RSRC2:TRAP_HANDLER: 0
; COMPUTE_PGM_RSRC2:TGID_X_EN: 1
; COMPUTE_PGM_RSRC2:TGID_Y_EN: 0
; COMPUTE_PGM_RSRC2:TGID_Z_EN: 0
; COMPUTE_PGM_RSRC2:TIDIG_COMP_CNT: 0
; COMPUTE_PGM_RSRC3_GFX90A:ACCUM_OFFSET: 4
; COMPUTE_PGM_RSRC3_GFX90A:TG_SPLIT: 0
	.section	.text._ZL9initMinusiiPKiS0_PK8EdgeInfoPb,"axG",@progbits,_ZL9initMinusiiPKiS0_PK8EdgeInfoPb,comdat
	.globl	_ZL9initMinusiiPKiS0_PK8EdgeInfoPb ; -- Begin function _ZL9initMinusiiPKiS0_PK8EdgeInfoPb
	.p2align	8
	.type	_ZL9initMinusiiPKiS0_PK8EdgeInfoPb,@function
_ZL9initMinusiiPKiS0_PK8EdgeInfoPb:     ; @_ZL9initMinusiiPKiS0_PK8EdgeInfoPb
; %bb.0:
	s_load_dword s2, s[4:5], 0x28
	s_load_dwordx2 s[20:21], s[4:5], 0x0
	s_load_dwordx4 s[16:19], s[4:5], 0x18
	v_lshl_add_u32 v0, s6, 8, v0
	s_waitcnt lgkmcnt(0)
	s_lshl_b32 s28, s2, 8
	v_cmp_gt_i32_e32 vcc, s20, v0
	s_and_saveexec_b64 s[22:23], vcc
	s_cbranch_execz .LBB7_8
; %bb.1:
	v_cvt_f32_u32_e32 v2, s28
	v_add_u32_e32 v1, s28, v0
	v_mov_b32_e32 v3, s28
	v_cmp_gt_i32_e32 vcc, s20, v1
	v_rcp_iflag_f32_e32 v2, v2
	s_sub_i32 s3, 0, s28
	v_max_i32_e32 v4, s20, v1
	v_addc_co_u32_e64 v3, s[0:1], v0, v3, vcc
	v_mul_f32_e32 v2, 0x4f7ffffe, v2
	v_cvt_u32_f32_e32 v2, v2
	v_sub_u32_e32 v3, v4, v3
	v_mul_lo_u32 v4, s3, v2
	v_mul_hi_u32 v4, v2, v4
	v_add_u32_e32 v2, v2, v4
	v_mul_hi_u32 v2, v3, v2
	v_mul_lo_u32 v4, v2, s28
	v_sub_u32_e32 v3, v3, v4
	v_add_u32_e32 v5, 1, v2
	v_cmp_le_u32_e64 s[0:1], s28, v3
	v_subrev_u32_e32 v4, s28, v3
	v_cndmask_b32_e64 v2, v2, v5, s[0:1]
	v_cndmask_b32_e64 v3, v3, v4, s[0:1]
	v_add_u32_e32 v4, 1, v2
	v_cmp_le_u32_e64 s[0:1], s28, v3
	v_cndmask_b32_e64 v2, v2, v4, s[0:1]
	v_addc_co_u32_e32 v10, vcc, 1, v2, vcc
	v_cmp_lt_u32_e32 vcc, 7, v10
	s_mov_b64 s[0:1], -1
	v_mov_b32_e32 v2, v0
	s_and_saveexec_b64 s[24:25], vcc
	s_cbranch_execz .LBB7_5
; %bb.2:
	v_mad_u64_u32 v[8:9], s[0:1], s28, 7, v[0:1]
	v_mad_u64_u32 v[6:7], s[0:1], s28, 6, v[0:1]
	;; [unrolled: 1-line block ×4, first 2 shown]
	v_lshl_add_u32 v4, s28, 2, v0
	v_lshl_add_u32 v2, s28, 1, v0
	v_mov_b32_e32 v3, v16
	v_mov_b32_e32 v5, v14
	;; [unrolled: 1-line block ×3, first 2 shown]
	v_and_b32_e32 v11, -8, v10
	s_lshl_b32 s29, s2, 11
	v_pk_mov_b32 v[8:9], v[6:7], v[6:7] op_sel:[0,1]
	v_mov_b32_e32 v12, 1
	s_mov_b32 s30, s29
	s_mov_b32 s31, s29
	s_mov_b32 s33, s29
	s_mov_b32 s34, s29
	s_mov_b32 s35, s29
	s_mov_b32 s36, s29
	s_mov_b32 s37, s29
	s_mov_b64 s[26:27], 0
	v_mov_b32_e32 v13, s19
	v_mov_b32_e32 v14, v11
	v_pk_mov_b32 v[6:7], v[4:5], v[4:5] op_sel:[0,1]
	v_pk_mov_b32 v[4:5], v[2:3], v[2:3] op_sel:[0,1]
	;; [unrolled: 1-line block ×3, first 2 shown]
.LBB7_3:                                ; =>This Inner Loop Header: Depth=1
	v_ashrrev_i32_e32 v1, 31, v9
	v_ashrrev_i32_e32 v15, 31, v8
	;; [unrolled: 1-line block ×8, first 2 shown]
	v_add_co_u32_e32 v16, vcc, s18, v3
	v_add_co_u32_e64 v18, s[0:1], s18, v4
	v_add_co_u32_e64 v20, s[2:3], s18, v5
	;; [unrolled: 1-line block ×7, first 2 shown]
	v_add_u32_e32 v14, -8, v14
	v_addc_co_u32_e64 v31, s[14:15], v13, v27, s[14:15]
	v_addc_co_u32_e32 v17, vcc, v13, v17, vcc
	v_addc_co_u32_e64 v19, vcc, v13, v19, s[0:1]
	v_addc_co_u32_e64 v21, vcc, v13, v21, s[2:3]
	;; [unrolled: 1-line block ×6, first 2 shown]
	v_cmp_eq_u32_e32 vcc, 0, v14
	v_add_u32_e32 v9, s37, v9
	v_add_u32_e32 v8, s36, v8
	;; [unrolled: 1-line block ×8, first 2 shown]
	s_or_b64 s[26:27], vcc, s[26:27]
	global_store_byte v[30:31], v12, off
	global_store_byte v[16:17], v12, off
	global_store_byte v[18:19], v12, off
	global_store_byte v[20:21], v12, off
	global_store_byte v[22:23], v12, off
	global_store_byte v[24:25], v12, off
	global_store_byte v[26:27], v12, off
	global_store_byte v[28:29], v12, off
	s_andn2_b64 exec, exec, s[26:27]
	s_cbranch_execnz .LBB7_3
; %bb.4:
	s_or_b64 exec, exec, s[26:27]
	v_mad_u64_u32 v[2:3], s[0:1], v11, s28, v[0:1]
	v_cmp_ne_u32_e32 vcc, v10, v11
	s_orn2_b64 s[0:1], vcc, exec
.LBB7_5:
	s_or_b64 exec, exec, s[24:25]
	s_and_b64 exec, exec, s[0:1]
	s_cbranch_execz .LBB7_8
; %bb.6:
	s_ashr_i32 s2, s28, 31
	v_ashrrev_i32_e32 v1, 31, v2
	s_mov_b64 s[0:1], 0
	v_mov_b32_e32 v3, s19
	v_mov_b32_e32 v4, 1
	;; [unrolled: 1-line block ×3, first 2 shown]
.LBB7_7:                                ; =>This Inner Loop Header: Depth=1
	v_add_co_u32_e32 v6, vcc, s18, v2
	v_addc_co_u32_e32 v7, vcc, v3, v1, vcc
	v_add_co_u32_e32 v2, vcc, s28, v2
	v_addc_co_u32_e32 v1, vcc, v1, v5, vcc
	v_cmp_le_i32_e32 vcc, s20, v2
	s_or_b64 s[0:1], vcc, s[0:1]
	global_store_byte v[6:7], v4, off
	s_andn2_b64 exec, exec, s[0:1]
	s_cbranch_execnz .LBB7_7
.LBB7_8:
	s_or_b64 exec, exec, s[22:23]
	v_cmp_gt_i32_e32 vcc, s21, v0
	s_and_saveexec_b64 s[0:1], vcc
	s_cbranch_execz .LBB7_16
; %bb.9:
	s_load_dwordx4 s[0:3], s[4:5], 0x8
	s_add_u32 s14, s16, 4
	s_addc_u32 s15, s17, 0
	s_mov_b64 s[4:5], 0
	s_waitcnt lgkmcnt(0)
	v_mov_b32_e32 v10, s1
	s_branch .LBB7_11
.LBB7_10:                               ;   in Loop: Header=BB7_11 Depth=1
	s_or_b64 exec, exec, s[6:7]
	v_add_u32_e32 v0, s28, v0
	v_cmp_le_i32_e32 vcc, s21, v0
	s_or_b64 s[4:5], vcc, s[4:5]
	s_andn2_b64 exec, exec, s[4:5]
	s_cbranch_execz .LBB7_16
.LBB7_11:                               ; =>This Loop Header: Depth=1
                                        ;     Child Loop BB7_14 Depth 2
	v_ashrrev_i32_e32 v1, 31, v0
	v_lshlrev_b64 v[2:3], 2, v[0:1]
	v_add_co_u32_e32 v2, vcc, s0, v2
	v_addc_co_u32_e32 v3, vcc, v10, v3, vcc
	global_load_dwordx2 v[2:3], v[2:3], off
	s_waitcnt vmcnt(0)
	v_cmp_lt_i32_e32 vcc, v2, v3
	s_and_saveexec_b64 s[6:7], vcc
	s_cbranch_execz .LBB7_10
; %bb.12:                               ;   in Loop: Header=BB7_11 Depth=1
	v_ashrrev_i32_e32 v5, 31, v2
	v_mov_b32_e32 v4, v2
	v_lshlrev_b64 v[6:7], 2, v[4:5]
	v_mov_b32_e32 v1, s3
	v_add_co_u32_e32 v6, vcc, s2, v6
	v_addc_co_u32_e32 v7, vcc, v1, v7, vcc
	v_lshlrev_b64 v[8:9], 3, v[4:5]
	v_mov_b32_e32 v1, s15
	v_add_co_u32_e32 v8, vcc, s14, v8
	v_addc_co_u32_e32 v9, vcc, v1, v9, vcc
	s_mov_b64 s[8:9], 0
                                        ; implicit-def: $sgpr10_sgpr11
	s_branch .LBB7_14
.LBB7_13:                               ;   in Loop: Header=BB7_14 Depth=2
	s_or_b64 exec, exec, s[12:13]
	s_and_b64 s[12:13], exec, s[10:11]
	s_or_b64 s[8:9], s[12:13], s[8:9]
	s_andn2_b64 exec, exec, s[8:9]
	s_cbranch_execz .LBB7_10
.LBB7_14:                               ;   Parent Loop BB7_11 Depth=1
                                        ; =>  This Inner Loop Header: Depth=2
	global_load_dword v1, v[6:7], off
	s_or_b64 s[10:11], s[10:11], exec
	s_waitcnt vmcnt(0)
	v_and_b32_e32 v1, 1, v1
	v_cmp_eq_u32_e32 vcc, 1, v1
	s_and_saveexec_b64 s[12:13], vcc
	s_cbranch_execz .LBB7_13
; %bb.15:                               ;   in Loop: Header=BB7_14 Depth=2
	global_load_dword v1, v[8:9], off
	v_add_co_u32_e32 v6, vcc, 4, v6
	v_addc_co_u32_e32 v7, vcc, 0, v7, vcc
	v_add_co_u32_e32 v8, vcc, 8, v8
	v_addc_co_u32_e32 v9, vcc, 0, v9, vcc
	v_mov_b32_e32 v2, s19
	v_add_co_u32_e32 v12, vcc, s18, v4
	v_addc_co_u32_e32 v13, vcc, v2, v5, vcc
	v_add_co_u32_e32 v4, vcc, 1, v4
	v_addc_co_u32_e32 v5, vcc, 0, v5, vcc
	v_cmp_ge_i32_e32 vcc, v4, v3
	s_andn2_b64 s[10:11], s[10:11], exec
	s_and_b64 s[16:17], vcc, exec
	s_or_b64 s[10:11], s[10:11], s[16:17]
	s_waitcnt vmcnt(0)
	v_and_b32_e32 v1, 1, v1
	global_store_byte v[12:13], v1, off
	s_branch .LBB7_13
.LBB7_16:
	s_endpgm
	.section	.rodata,"a",@progbits
	.p2align	6, 0x0
	.amdhsa_kernel _ZL9initMinusiiPKiS0_PK8EdgeInfoPb
		.amdhsa_group_segment_fixed_size 0
		.amdhsa_private_segment_fixed_size 0
		.amdhsa_kernarg_size 296
		.amdhsa_user_sgpr_count 6
		.amdhsa_user_sgpr_private_segment_buffer 1
		.amdhsa_user_sgpr_dispatch_ptr 0
		.amdhsa_user_sgpr_queue_ptr 0
		.amdhsa_user_sgpr_kernarg_segment_ptr 1
		.amdhsa_user_sgpr_dispatch_id 0
		.amdhsa_user_sgpr_flat_scratch_init 0
		.amdhsa_user_sgpr_kernarg_preload_length 0
		.amdhsa_user_sgpr_kernarg_preload_offset 0
		.amdhsa_user_sgpr_private_segment_size 0
		.amdhsa_uses_dynamic_stack 0
		.amdhsa_system_sgpr_private_segment_wavefront_offset 0
		.amdhsa_system_sgpr_workgroup_id_x 1
		.amdhsa_system_sgpr_workgroup_id_y 0
		.amdhsa_system_sgpr_workgroup_id_z 0
		.amdhsa_system_sgpr_workgroup_info 0
		.amdhsa_system_vgpr_workitem_id 0
		.amdhsa_next_free_vgpr 32
		.amdhsa_next_free_sgpr 38
		.amdhsa_accum_offset 32
		.amdhsa_reserve_vcc 1
		.amdhsa_reserve_flat_scratch 0
		.amdhsa_float_round_mode_32 0
		.amdhsa_float_round_mode_16_64 0
		.amdhsa_float_denorm_mode_32 3
		.amdhsa_float_denorm_mode_16_64 3
		.amdhsa_dx10_clamp 1
		.amdhsa_ieee_mode 1
		.amdhsa_fp16_overflow 0
		.amdhsa_tg_split 0
		.amdhsa_exception_fp_ieee_invalid_op 0
		.amdhsa_exception_fp_denorm_src 0
		.amdhsa_exception_fp_ieee_div_zero 0
		.amdhsa_exception_fp_ieee_overflow 0
		.amdhsa_exception_fp_ieee_underflow 0
		.amdhsa_exception_fp_ieee_inexact 0
		.amdhsa_exception_int_div_zero 0
	.end_amdhsa_kernel
	.section	.text._ZL9initMinusiiPKiS0_PK8EdgeInfoPb,"axG",@progbits,_ZL9initMinusiiPKiS0_PK8EdgeInfoPb,comdat
.Lfunc_end7:
	.size	_ZL9initMinusiiPKiS0_PK8EdgeInfoPb, .Lfunc_end7-_ZL9initMinusiiPKiS0_PK8EdgeInfoPb
                                        ; -- End function
	.section	.AMDGPU.csdata,"",@progbits
; Kernel info:
; codeLenInByte = 1036
; NumSgprs: 42
; NumVgprs: 32
; NumAgprs: 0
; TotalNumVgprs: 32
; ScratchSize: 0
; MemoryBound: 0
; FloatMode: 240
; IeeeMode: 1
; LDSByteSize: 0 bytes/workgroup (compile time only)
; SGPRBlocks: 5
; VGPRBlocks: 3
; NumSGPRsForWavesPerEU: 42
; NumVGPRsForWavesPerEU: 32
; AccumOffset: 32
; Occupancy: 8
; WaveLimiterHint : 0
; COMPUTE_PGM_RSRC2:SCRATCH_EN: 0
; COMPUTE_PGM_RSRC2:USER_SGPR: 6
; COMPUTE_PGM_RSRC2:TRAP_HANDLER: 0
; COMPUTE_PGM_RSRC2:TGID_X_EN: 1
; COMPUTE_PGM_RSRC2:TGID_Y_EN: 0
; COMPUTE_PGM_RSRC2:TGID_Z_EN: 0
; COMPUTE_PGM_RSRC2:TIDIG_COMP_CNT: 0
; COMPUTE_PGM_RSRC3_GFX90A:ACCUM_OFFSET: 7
; COMPUTE_PGM_RSRC3_GFX90A:TG_SPLIT: 0
	.section	.text._ZL5init3iPKiS0_PiS1_,"axG",@progbits,_ZL5init3iPKiS0_PiS1_,comdat
	.globl	_ZL5init3iPKiS0_PiS1_           ; -- Begin function _ZL5init3iPKiS0_PiS1_
	.p2align	8
	.type	_ZL5init3iPKiS0_PiS1_,@function
_ZL5init3iPKiS0_PiS1_:                  ; @_ZL5init3iPKiS0_PiS1_
; %bb.0:
	s_load_dword s14, s[4:5], 0x0
	v_lshl_add_u32 v0, s6, 8, v0
	s_waitcnt lgkmcnt(0)
	v_cmp_gt_i32_e32 vcc, s14, v0
	s_and_saveexec_b64 s[0:1], vcc
	s_cbranch_execz .LBB8_15
; %bb.1:
	s_load_dword s15, s[4:5], 0x28
	s_load_dwordx2 s[8:9], s[4:5], 0x18
	s_waitcnt lgkmcnt(0)
	s_lshl_b32 s6, s15, 8
	v_cvt_f32_u32_e32 v2, s6
	v_add_u32_e32 v1, s6, v0
	v_mov_b32_e32 v3, s6
	v_cmp_gt_i32_e32 vcc, s14, v1
	v_rcp_iflag_f32_e32 v2, v2
	s_sub_i32 s2, 0, s6
	v_max_i32_e32 v4, s14, v1
	v_addc_co_u32_e64 v3, s[0:1], v0, v3, vcc
	v_mul_f32_e32 v2, 0x4f7ffffe, v2
	v_cvt_u32_f32_e32 v2, v2
	v_sub_u32_e32 v3, v4, v3
	v_mul_lo_u32 v4, s2, v2
	v_mul_hi_u32 v4, v2, v4
	v_add_u32_e32 v2, v2, v4
	v_mul_hi_u32 v2, v3, v2
	v_mul_lo_u32 v4, v2, s6
	v_sub_u32_e32 v3, v3, v4
	v_add_u32_e32 v5, 1, v2
	v_cmp_le_u32_e64 s[0:1], s6, v3
	v_subrev_u32_e32 v4, s6, v3
	v_cndmask_b32_e64 v2, v2, v5, s[0:1]
	v_cndmask_b32_e64 v3, v3, v4, s[0:1]
	v_add_u32_e32 v4, 1, v2
	v_cmp_le_u32_e64 s[0:1], s6, v3
	v_cndmask_b32_e64 v2, v2, v4, s[0:1]
	v_addc_co_u32_e32 v6, vcc, 1, v2, vcc
	v_cmp_lt_u32_e32 vcc, 1, v6
	s_mov_b64 s[0:1], -1
	v_and_b32_e32 v7, -2, v6
	v_mov_b32_e32 v2, v0
	s_and_saveexec_b64 s[10:11], vcc
	s_cbranch_execz .LBB8_5
; %bb.2:
	v_and_b32_e32 v4, -2, v6
	s_lshl_b32 s7, s15, 9
	s_mov_b32 s16, s7
	s_mov_b64 s[12:13], 0
	v_mov_b32_e32 v5, s9
	v_mov_b32_e32 v8, v0
	;; [unrolled: 1-line block ×3, first 2 shown]
	v_pk_mov_b32 v[2:3], v[0:1], v[0:1] op_sel:[0,1]
.LBB8_3:                                ; =>This Inner Loop Header: Depth=1
	v_ashrrev_i32_e32 v13, 31, v2
	v_mov_b32_e32 v12, v2
	v_lshlrev_b64 v[12:13], 2, v[12:13]
	v_ashrrev_i32_e32 v11, 31, v3
	v_mov_b32_e32 v10, v3
	v_add_co_u32_e64 v12, s[2:3], s8, v12
	v_add_u32_e32 v9, -2, v9
	v_lshlrev_b64 v[10:11], 2, v[10:11]
	v_addc_co_u32_e64 v13, s[2:3], v5, v13, s[2:3]
	v_cmp_eq_u32_e64 s[0:1], 0, v9
	v_add_co_u32_e64 v10, s[2:3], s8, v10
	v_add_u32_e32 v14, s6, v8
	v_add_u32_e32 v3, s16, v3
	;; [unrolled: 1-line block ×3, first 2 shown]
	v_addc_co_u32_e64 v11, s[2:3], v5, v11, s[2:3]
	s_or_b64 s[12:13], s[0:1], s[12:13]
	global_store_dword v[12:13], v8, off
	global_store_dword v[10:11], v14, off
	v_add_u32_e32 v8, s7, v8
	s_andn2_b64 exec, exec, s[12:13]
	s_cbranch_execnz .LBB8_3
; %bb.4:
	s_or_b64 exec, exec, s[12:13]
	v_mad_u64_u32 v[2:3], s[0:1], v4, s6, v[0:1]
	v_cmp_ne_u32_e64 s[0:1], v6, v4
	s_orn2_b64 s[0:1], s[0:1], exec
.LBB8_5:
	s_or_b64 exec, exec, s[10:11]
	s_load_dwordx2 s[4:5], s[4:5], 0x20
	s_and_saveexec_b64 s[10:11], s[0:1]
	s_cbranch_execz .LBB8_8
; %bb.6:
	v_ashrrev_i32_e32 v3, 31, v2
	v_lshlrev_b64 v[4:5], 2, v[2:3]
	s_ashr_i32 s7, s6, 31
	v_mov_b32_e32 v3, s9
	v_add_co_u32_e64 v4, s[0:1], s8, v4
	s_lshl_b64 s[8:9], s[6:7], 2
	v_addc_co_u32_e64 v5, s[0:1], v3, v5, s[0:1]
	s_mov_b64 s[12:13], 0
	v_mov_b32_e32 v3, s9
.LBB8_7:                                ; =>This Inner Loop Header: Depth=1
	global_store_dword v[4:5], v2, off
	v_add_u32_e32 v2, s6, v2
	v_add_co_u32_e64 v4, s[0:1], s8, v4
	v_cmp_le_i32_e64 s[2:3], s14, v2
	s_or_b64 s[12:13], s[2:3], s[12:13]
	v_addc_co_u32_e64 v5, s[0:1], v5, v3, s[0:1]
	s_andn2_b64 exec, exec, s[12:13]
	s_cbranch_execnz .LBB8_7
.LBB8_8:
	s_or_b64 exec, exec, s[10:11]
	s_mov_b64 s[0:1], -1
	s_and_saveexec_b64 s[2:3], vcc
	s_cbranch_execz .LBB8_12
; %bb.9:
	s_lshl_b32 s7, s15, 9
	s_mov_b32 s10, s7
	s_mov_b64 s[8:9], 0
	s_waitcnt lgkmcnt(0)
	v_mov_b32_e32 v4, s5
	v_mov_b32_e32 v5, 0
	v_mov_b32_e32 v8, v7
	v_pk_mov_b32 v[2:3], v[0:1], v[0:1] op_sel:[0,1]
.LBB8_10:                               ; =>This Inner Loop Header: Depth=1
	v_ashrrev_i32_e32 v13, 31, v2
	v_mov_b32_e32 v12, v2
	v_lshlrev_b64 v[12:13], 2, v[12:13]
	v_ashrrev_i32_e32 v11, 31, v3
	v_mov_b32_e32 v10, v3
	v_add_u32_e32 v8, -2, v8
	v_add_co_u32_e64 v12, s[0:1], s4, v12
	v_lshlrev_b64 v[10:11], 2, v[10:11]
	v_cmp_eq_u32_e32 vcc, 0, v8
	v_addc_co_u32_e64 v13, s[0:1], v4, v13, s[0:1]
	v_add_u32_e32 v3, s10, v3
	v_add_u32_e32 v2, s7, v2
	v_add_co_u32_e64 v10, s[0:1], s4, v10
	s_or_b64 s[8:9], vcc, s[8:9]
	v_addc_co_u32_e64 v11, s[0:1], v4, v11, s[0:1]
	global_store_dword v[12:13], v5, off
	global_store_dword v[10:11], v5, off
	s_andn2_b64 exec, exec, s[8:9]
	s_cbranch_execnz .LBB8_10
; %bb.11:
	s_or_b64 exec, exec, s[8:9]
	v_mad_u64_u32 v[0:1], s[0:1], v7, s6, v[0:1]
	v_cmp_ne_u32_e32 vcc, v6, v7
	s_orn2_b64 s[0:1], vcc, exec
.LBB8_12:
	s_or_b64 exec, exec, s[2:3]
	s_and_b64 exec, exec, s[0:1]
	s_cbranch_execz .LBB8_15
; %bb.13:
	v_ashrrev_i32_e32 v1, 31, v0
	v_lshlrev_b64 v[2:3], 2, v[0:1]
	s_ashr_i32 s7, s6, 31
	s_waitcnt lgkmcnt(0)
	v_mov_b32_e32 v1, s5
	v_add_co_u32_e32 v2, vcc, s4, v2
	s_lshl_b64 s[2:3], s[6:7], 2
	v_addc_co_u32_e32 v3, vcc, v1, v3, vcc
	s_mov_b64 s[4:5], 0
	v_mov_b32_e32 v1, 0
	v_mov_b32_e32 v4, s3
.LBB8_14:                               ; =>This Inner Loop Header: Depth=1
	v_add_u32_e32 v0, s6, v0
	global_store_dword v[2:3], v1, off
	v_add_co_u32_e32 v2, vcc, s2, v2
	v_cmp_le_i32_e64 s[0:1], s14, v0
	s_or_b64 s[4:5], s[0:1], s[4:5]
	v_addc_co_u32_e32 v3, vcc, v3, v4, vcc
	s_andn2_b64 exec, exec, s[4:5]
	s_cbranch_execnz .LBB8_14
.LBB8_15:
	s_endpgm
	.section	.rodata,"a",@progbits
	.p2align	6, 0x0
	.amdhsa_kernel _ZL5init3iPKiS0_PiS1_
		.amdhsa_group_segment_fixed_size 0
		.amdhsa_private_segment_fixed_size 0
		.amdhsa_kernarg_size 296
		.amdhsa_user_sgpr_count 6
		.amdhsa_user_sgpr_private_segment_buffer 1
		.amdhsa_user_sgpr_dispatch_ptr 0
		.amdhsa_user_sgpr_queue_ptr 0
		.amdhsa_user_sgpr_kernarg_segment_ptr 1
		.amdhsa_user_sgpr_dispatch_id 0
		.amdhsa_user_sgpr_flat_scratch_init 0
		.amdhsa_user_sgpr_kernarg_preload_length 0
		.amdhsa_user_sgpr_kernarg_preload_offset 0
		.amdhsa_user_sgpr_private_segment_size 0
		.amdhsa_uses_dynamic_stack 0
		.amdhsa_system_sgpr_private_segment_wavefront_offset 0
		.amdhsa_system_sgpr_workgroup_id_x 1
		.amdhsa_system_sgpr_workgroup_id_y 0
		.amdhsa_system_sgpr_workgroup_id_z 0
		.amdhsa_system_sgpr_workgroup_info 0
		.amdhsa_system_vgpr_workitem_id 0
		.amdhsa_next_free_vgpr 15
		.amdhsa_next_free_sgpr 17
		.amdhsa_accum_offset 16
		.amdhsa_reserve_vcc 1
		.amdhsa_reserve_flat_scratch 0
		.amdhsa_float_round_mode_32 0
		.amdhsa_float_round_mode_16_64 0
		.amdhsa_float_denorm_mode_32 3
		.amdhsa_float_denorm_mode_16_64 3
		.amdhsa_dx10_clamp 1
		.amdhsa_ieee_mode 1
		.amdhsa_fp16_overflow 0
		.amdhsa_tg_split 0
		.amdhsa_exception_fp_ieee_invalid_op 0
		.amdhsa_exception_fp_denorm_src 0
		.amdhsa_exception_fp_ieee_div_zero 0
		.amdhsa_exception_fp_ieee_overflow 0
		.amdhsa_exception_fp_ieee_underflow 0
		.amdhsa_exception_fp_ieee_inexact 0
		.amdhsa_exception_int_div_zero 0
	.end_amdhsa_kernel
	.section	.text._ZL5init3iPKiS0_PiS1_,"axG",@progbits,_ZL5init3iPKiS0_PiS1_,comdat
.Lfunc_end8:
	.size	_ZL5init3iPKiS0_PiS1_, .Lfunc_end8-_ZL5init3iPKiS0_PiS1_
                                        ; -- End function
	.section	.AMDGPU.csdata,"",@progbits
; Kernel info:
; codeLenInByte = 808
; NumSgprs: 21
; NumVgprs: 15
; NumAgprs: 0
; TotalNumVgprs: 15
; ScratchSize: 0
; MemoryBound: 0
; FloatMode: 240
; IeeeMode: 1
; LDSByteSize: 0 bytes/workgroup (compile time only)
; SGPRBlocks: 2
; VGPRBlocks: 1
; NumSGPRsForWavesPerEU: 21
; NumVGPRsForWavesPerEU: 15
; AccumOffset: 16
; Occupancy: 8
; WaveLimiterHint : 0
; COMPUTE_PGM_RSRC2:SCRATCH_EN: 0
; COMPUTE_PGM_RSRC2:USER_SGPR: 6
; COMPUTE_PGM_RSRC2:TRAP_HANDLER: 0
; COMPUTE_PGM_RSRC2:TGID_X_EN: 1
; COMPUTE_PGM_RSRC2:TGID_Y_EN: 0
; COMPUTE_PGM_RSRC2:TGID_Z_EN: 0
; COMPUTE_PGM_RSRC2:TIDIG_COMP_CNT: 0
; COMPUTE_PGM_RSRC3_GFX90A:ACCUM_OFFSET: 3
; COMPUTE_PGM_RSRC3_GFX90A:TG_SPLIT: 0
	.section	.text._ZL8compute1iPKiS0_PiPKbS1_,"axG",@progbits,_ZL8compute1iPKiS0_PiPKbS1_,comdat
	.globl	_ZL8compute1iPKiS0_PiPKbS1_     ; -- Begin function _ZL8compute1iPKiS0_PiPKbS1_
	.p2align	8
	.type	_ZL8compute1iPKiS0_PiPKbS1_,@function
_ZL8compute1iPKiS0_PiPKbS1_:            ; @_ZL8compute1iPKiS0_PiPKbS1_
; %bb.0:
	s_load_dword s28, s[4:5], 0x0
	v_lshl_add_u32 v1, s6, 8, v0
	v_lshrrev_b32_e32 v2, 6, v1
	s_waitcnt lgkmcnt(0)
	v_cmp_gt_i32_e32 vcc, s28, v2
	s_and_saveexec_b64 s[0:1], vcc
	s_cbranch_execz .LBB9_30
; %bb.1:
	s_load_dword s6, s[4:5], 0x30
	s_load_dwordx2 s[0:1], s[4:5], 0x28
	s_load_dwordx8 s[8:15], s[4:5], 0x8
	v_and_b32_e32 v14, 63, v0
	s_mov_b64 s[2:3], 0
	s_waitcnt lgkmcnt(0)
	s_lshl_b32 s4, s6, 2
	s_and_b32 s29, s4, 0x3fffffc
	v_mov_b32_e32 v3, 0
	v_mov_b32_e32 v15, s9
	v_mov_b32_e32 v16, s13
	s_branch .LBB9_3
.LBB9_2:                                ;   in Loop: Header=BB9_3 Depth=1
	s_or_b64 exec, exec, s[4:5]
	v_add_u32_e32 v2, s29, v2
	v_cmp_le_i32_e32 vcc, s28, v2
	s_or_b64 s[2:3], vcc, s[2:3]
	s_andn2_b64 exec, exec, s[2:3]
	s_cbranch_execz .LBB9_30
.LBB9_3:                                ; =>This Loop Header: Depth=1
                                        ;     Child Loop BB9_6 Depth 2
                                        ;     Child Loop BB9_12 Depth 2
                                        ;       Child Loop BB9_16 Depth 3
                                        ;       Child Loop BB9_22 Depth 3
	v_lshlrev_b64 v[0:1], 2, v[2:3]
	v_add_co_u32_e32 v4, vcc, s12, v0
	v_addc_co_u32_e32 v5, vcc, v16, v1, vcc
	v_add_co_u32_e32 v0, vcc, s8, v0
	global_load_dword v6, v[4:5], off
	v_addc_co_u32_e32 v1, vcc, v15, v1, vcc
	global_load_dwordx2 v[0:1], v[0:1], off
	v_mov_b32_e32 v4, v2
	s_waitcnt vmcnt(1)
	v_cmp_ne_u32_e32 vcc, v6, v2
	s_and_saveexec_b64 s[4:5], vcc
	s_cbranch_execz .LBB9_9
; %bb.4:                                ;   in Loop: Header=BB9_3 Depth=1
	v_ashrrev_i32_e32 v7, 31, v6
	v_lshlrev_b64 v[4:5], 2, v[6:7]
	v_add_co_u32_e32 v4, vcc, s12, v4
	v_addc_co_u32_e32 v5, vcc, v16, v5, vcc
	global_load_dword v5, v[4:5], off
	s_waitcnt vmcnt(0)
	v_cmp_gt_i32_e32 vcc, v6, v5
	s_and_saveexec_b64 s[6:7], vcc
	s_cbranch_execz .LBB9_8
; %bb.5:                                ;   in Loop: Header=BB9_3 Depth=1
	s_mov_b64 s[16:17], 0
	v_mov_b32_e32 v8, v2
.LBB9_6:                                ;   Parent Loop BB9_3 Depth=1
                                        ; =>  This Inner Loop Header: Depth=2
	v_ashrrev_i32_e32 v9, 31, v8
	v_mov_b32_e32 v4, v5
	v_lshlrev_b64 v[8:9], 2, v[8:9]
	v_ashrrev_i32_e32 v5, 31, v4
	v_add_co_u32_e32 v8, vcc, s12, v8
	v_addc_co_u32_e32 v9, vcc, v16, v9, vcc
	v_lshlrev_b64 v[10:11], 2, v[4:5]
	global_store_dword v[8:9], v4, off
	v_add_co_u32_e32 v8, vcc, s12, v10
	v_addc_co_u32_e32 v9, vcc, v16, v11, vcc
	global_load_dword v5, v[8:9], off
	v_mov_b32_e32 v8, v6
	v_mov_b32_e32 v6, v4
	s_waitcnt vmcnt(0)
	v_cmp_le_i32_e32 vcc, v4, v5
	s_or_b64 s[16:17], vcc, s[16:17]
	s_andn2_b64 exec, exec, s[16:17]
	s_cbranch_execnz .LBB9_6
; %bb.7:                                ;   in Loop: Header=BB9_3 Depth=1
	s_or_b64 exec, exec, s[16:17]
	v_mov_b32_e32 v6, v4
.LBB9_8:                                ;   in Loop: Header=BB9_3 Depth=1
	s_or_b64 exec, exec, s[6:7]
	v_mov_b32_e32 v4, v6
.LBB9_9:                                ;   in Loop: Header=BB9_3 Depth=1
	s_or_b64 exec, exec, s[4:5]
	s_waitcnt vmcnt(0)
	v_add_u32_e32 v6, v0, v14
	v_cmp_lt_i32_e32 vcc, v6, v1
	s_and_saveexec_b64 s[4:5], vcc
	s_cbranch_execz .LBB9_2
; %bb.10:                               ;   in Loop: Header=BB9_3 Depth=1
	s_mov_b64 s[6:7], 0
	s_branch .LBB9_12
.LBB9_11:                               ;   in Loop: Header=BB9_12 Depth=2
	s_or_b64 exec, exec, s[16:17]
	v_add_u32_e32 v6, 64, v6
	v_cmp_ge_i32_e32 vcc, v6, v1
	s_or_b64 s[6:7], vcc, s[6:7]
	s_andn2_b64 exec, exec, s[6:7]
	s_cbranch_execz .LBB9_2
.LBB9_12:                               ;   Parent Loop BB9_3 Depth=1
                                        ; =>  This Loop Header: Depth=2
                                        ;       Child Loop BB9_16 Depth 3
                                        ;       Child Loop BB9_22 Depth 3
	v_ashrrev_i32_e32 v7, 31, v6
	v_mov_b32_e32 v0, s15
	v_add_co_u32_e32 v8, vcc, s14, v6
	v_addc_co_u32_e32 v9, vcc, v0, v7, vcc
	global_load_ubyte v0, v[8:9], off
	v_lshlrev_b64 v[8:9], 2, v[6:7]
	s_waitcnt vmcnt(0)
	v_and_b32_e32 v0, 1, v0
	v_cmp_eq_u32_e32 vcc, 1, v0
	s_xor_b64 s[16:17], vcc, -1
	s_and_saveexec_b64 s[18:19], s[16:17]
	s_xor_b64 s[16:17], exec, s[18:19]
	s_cbranch_execz .LBB9_28
; %bb.13:                               ;   in Loop: Header=BB9_12 Depth=2
	v_mov_b32_e32 v0, s11
	v_add_co_u32_e32 v8, vcc, s10, v8
	v_addc_co_u32_e32 v9, vcc, v0, v9, vcc
	global_load_dword v0, v[8:9], off
	s_waitcnt vmcnt(0)
	v_ashrrev_i32_e32 v8, 1, v0
	v_ashrrev_i32_e32 v9, 31, v8
	v_lshlrev_b64 v[10:11], 2, v[8:9]
	v_add_co_u32_e32 v10, vcc, s12, v10
	v_addc_co_u32_e32 v11, vcc, v16, v11, vcc
	global_load_dword v10, v[10:11], off
	s_waitcnt vmcnt(0)
	v_cmp_ne_u32_e32 vcc, v10, v8
	s_and_saveexec_b64 s[18:19], vcc
	s_cbranch_execz .LBB9_19
; %bb.14:                               ;   in Loop: Header=BB9_12 Depth=2
	v_ashrrev_i32_e32 v11, 31, v10
	v_lshlrev_b64 v[12:13], 2, v[10:11]
	v_add_co_u32_e32 v12, vcc, s12, v12
	v_addc_co_u32_e32 v13, vcc, v16, v13, vcc
	global_load_dword v0, v[12:13], off
	s_waitcnt vmcnt(0)
	v_cmp_gt_i32_e32 vcc, v10, v0
	s_and_saveexec_b64 s[20:21], vcc
	s_cbranch_execz .LBB9_18
; %bb.15:                               ;   in Loop: Header=BB9_12 Depth=2
	s_mov_b64 s[22:23], 0
.LBB9_16:                               ;   Parent Loop BB9_3 Depth=1
                                        ;     Parent Loop BB9_12 Depth=2
                                        ; =>    This Inner Loop Header: Depth=3
	v_ashrrev_i32_e32 v9, 31, v8
	v_mov_b32_e32 v12, v0
	v_lshlrev_b64 v[8:9], 2, v[8:9]
	v_ashrrev_i32_e32 v13, 31, v12
	v_add_co_u32_e32 v8, vcc, s12, v8
	v_addc_co_u32_e32 v9, vcc, v16, v9, vcc
	v_lshlrev_b64 v[18:19], 2, v[12:13]
	global_store_dword v[8:9], v0, off
	v_add_co_u32_e32 v8, vcc, s12, v18
	v_addc_co_u32_e32 v9, vcc, v16, v19, vcc
	global_load_dword v0, v[8:9], off
	v_mov_b32_e32 v8, v10
	v_mov_b32_e32 v10, v12
	s_waitcnt vmcnt(0)
	v_cmp_le_i32_e32 vcc, v12, v0
	s_or_b64 s[22:23], vcc, s[22:23]
	s_andn2_b64 exec, exec, s[22:23]
	s_cbranch_execnz .LBB9_16
; %bb.17:                               ;   in Loop: Header=BB9_12 Depth=2
	s_or_b64 exec, exec, s[22:23]
	v_mov_b32_e32 v10, v12
.LBB9_18:                               ;   in Loop: Header=BB9_12 Depth=2
	s_or_b64 exec, exec, s[20:21]
	v_mov_b32_e32 v8, v10
.LBB9_19:                               ;   in Loop: Header=BB9_12 Depth=2
	s_or_b64 exec, exec, s[18:19]
	s_mov_b64 s[18:19], 0
                                        ; implicit-def: $sgpr20_sgpr21
	s_branch .LBB9_22
.LBB9_20:                               ;   in Loop: Header=BB9_22 Depth=3
	s_or_b64 exec, exec, s[26:27]
	s_andn2_b64 s[20:21], s[20:21], exec
	s_and_b64 s[24:25], s[24:25], exec
	s_or_b64 s[20:21], s[20:21], s[24:25]
	v_mov_b32_e32 v0, v8
.LBB9_21:                               ;   in Loop: Header=BB9_22 Depth=3
	s_or_b64 exec, exec, s[22:23]
	s_xor_b64 s[22:23], s[20:21], -1
	s_and_b64 s[22:23], exec, s[22:23]
	s_or_b64 s[18:19], s[22:23], s[18:19]
	v_mov_b32_e32 v8, v0
	s_andn2_b64 exec, exec, s[18:19]
	s_cbranch_execz .LBB9_27
.LBB9_22:                               ;   Parent Loop BB9_3 Depth=1
                                        ;     Parent Loop BB9_12 Depth=2
                                        ; =>    This Inner Loop Header: Depth=3
	v_cmp_ne_u32_e32 vcc, v4, v8
	s_andn2_b64 s[20:21], s[20:21], exec
	v_mov_b32_e32 v0, v4
	s_and_saveexec_b64 s[22:23], vcc
	s_cbranch_execz .LBB9_21
; %bb.23:                               ;   in Loop: Header=BB9_22 Depth=3
	v_cmp_ge_i32_e32 vcc, v4, v8
                                        ; implicit-def: $sgpr24_sgpr25
	s_and_saveexec_b64 s[26:27], vcc
	s_xor_b64 s[26:27], exec, s[26:27]
	s_cbranch_execz .LBB9_25
; %bb.24:                               ;   in Loop: Header=BB9_22 Depth=3
	v_ashrrev_i32_e32 v5, 31, v4
	v_lshlrev_b64 v[10:11], 2, v[4:5]
	v_mov_b32_e32 v0, s13
	v_add_co_u32_e32 v10, vcc, s12, v10
	v_addc_co_u32_e32 v11, vcc, v0, v11, vcc
	v_mov_b32_e32 v9, v4
	global_atomic_cmpswap v0, v[10:11], v[8:9], off glc
	s_waitcnt vmcnt(0)
	v_cmp_ne_u32_e32 vcc, v0, v4
	s_and_b64 s[24:25], vcc, exec
	v_mov_b32_e32 v4, v0
.LBB9_25:                               ;   in Loop: Header=BB9_22 Depth=3
	s_andn2_saveexec_b64 s[26:27], s[26:27]
	s_cbranch_execz .LBB9_20
; %bb.26:                               ;   in Loop: Header=BB9_22 Depth=3
	v_ashrrev_i32_e32 v9, 31, v8
	v_lshlrev_b64 v[10:11], 2, v[8:9]
	v_mov_b32_e32 v0, s13
	v_add_co_u32_e32 v10, vcc, s12, v10
	v_addc_co_u32_e32 v11, vcc, v0, v11, vcc
	v_mov_b32_e32 v5, v8
	global_atomic_cmpswap v0, v[10:11], v[4:5], off glc
	s_andn2_b64 s[24:25], s[24:25], exec
	s_waitcnt vmcnt(0)
	v_cmp_ne_u32_e32 vcc, v0, v8
	s_and_b64 s[30:31], vcc, exec
	s_or_b64 s[24:25], s[24:25], s[30:31]
	v_mov_b32_e32 v8, v0
	s_branch .LBB9_20
.LBB9_27:                               ;   in Loop: Header=BB9_12 Depth=2
	s_or_b64 exec, exec, s[18:19]
                                        ; implicit-def: $vgpr8_vgpr9
.LBB9_28:                               ;   in Loop: Header=BB9_12 Depth=2
	s_andn2_saveexec_b64 s[16:17], s[16:17]
	s_cbranch_execz .LBB9_11
; %bb.29:                               ;   in Loop: Header=BB9_12 Depth=2
	v_mov_b32_e32 v0, s1
	v_add_co_u32_e32 v8, vcc, s0, v8
	v_addc_co_u32_e32 v9, vcc, v0, v9, vcc
	global_load_dword v0, v[8:9], off
	s_waitcnt vmcnt(0)
	v_add_u32_e32 v0, 1, v0
	global_store_dword v[8:9], v0, off
	s_branch .LBB9_11
.LBB9_30:
	s_endpgm
	.section	.rodata,"a",@progbits
	.p2align	6, 0x0
	.amdhsa_kernel _ZL8compute1iPKiS0_PiPKbS1_
		.amdhsa_group_segment_fixed_size 0
		.amdhsa_private_segment_fixed_size 0
		.amdhsa_kernarg_size 304
		.amdhsa_user_sgpr_count 6
		.amdhsa_user_sgpr_private_segment_buffer 1
		.amdhsa_user_sgpr_dispatch_ptr 0
		.amdhsa_user_sgpr_queue_ptr 0
		.amdhsa_user_sgpr_kernarg_segment_ptr 1
		.amdhsa_user_sgpr_dispatch_id 0
		.amdhsa_user_sgpr_flat_scratch_init 0
		.amdhsa_user_sgpr_kernarg_preload_length 0
		.amdhsa_user_sgpr_kernarg_preload_offset 0
		.amdhsa_user_sgpr_private_segment_size 0
		.amdhsa_uses_dynamic_stack 0
		.amdhsa_system_sgpr_private_segment_wavefront_offset 0
		.amdhsa_system_sgpr_workgroup_id_x 1
		.amdhsa_system_sgpr_workgroup_id_y 0
		.amdhsa_system_sgpr_workgroup_id_z 0
		.amdhsa_system_sgpr_workgroup_info 0
		.amdhsa_system_vgpr_workitem_id 0
		.amdhsa_next_free_vgpr 20
		.amdhsa_next_free_sgpr 32
		.amdhsa_accum_offset 20
		.amdhsa_reserve_vcc 1
		.amdhsa_reserve_flat_scratch 0
		.amdhsa_float_round_mode_32 0
		.amdhsa_float_round_mode_16_64 0
		.amdhsa_float_denorm_mode_32 3
		.amdhsa_float_denorm_mode_16_64 3
		.amdhsa_dx10_clamp 1
		.amdhsa_ieee_mode 1
		.amdhsa_fp16_overflow 0
		.amdhsa_tg_split 0
		.amdhsa_exception_fp_ieee_invalid_op 0
		.amdhsa_exception_fp_denorm_src 0
		.amdhsa_exception_fp_ieee_div_zero 0
		.amdhsa_exception_fp_ieee_overflow 0
		.amdhsa_exception_fp_ieee_underflow 0
		.amdhsa_exception_fp_ieee_inexact 0
		.amdhsa_exception_int_div_zero 0
	.end_amdhsa_kernel
	.section	.text._ZL8compute1iPKiS0_PiPKbS1_,"axG",@progbits,_ZL8compute1iPKiS0_PiPKbS1_,comdat
.Lfunc_end9:
	.size	_ZL8compute1iPKiS0_PiPKbS1_, .Lfunc_end9-_ZL8compute1iPKiS0_PiPKbS1_
                                        ; -- End function
	.section	.AMDGPU.csdata,"",@progbits
; Kernel info:
; codeLenInByte = 956
; NumSgprs: 36
; NumVgprs: 20
; NumAgprs: 0
; TotalNumVgprs: 20
; ScratchSize: 0
; MemoryBound: 0
; FloatMode: 240
; IeeeMode: 1
; LDSByteSize: 0 bytes/workgroup (compile time only)
; SGPRBlocks: 4
; VGPRBlocks: 2
; NumSGPRsForWavesPerEU: 36
; NumVGPRsForWavesPerEU: 20
; AccumOffset: 20
; Occupancy: 8
; WaveLimiterHint : 1
; COMPUTE_PGM_RSRC2:SCRATCH_EN: 0
; COMPUTE_PGM_RSRC2:USER_SGPR: 6
; COMPUTE_PGM_RSRC2:TRAP_HANDLER: 0
; COMPUTE_PGM_RSRC2:TGID_X_EN: 1
; COMPUTE_PGM_RSRC2:TGID_Y_EN: 0
; COMPUTE_PGM_RSRC2:TGID_Z_EN: 0
; COMPUTE_PGM_RSRC2:TIDIG_COMP_CNT: 0
; COMPUTE_PGM_RSRC3_GFX90A:ACCUM_OFFSET: 4
; COMPUTE_PGM_RSRC3_GFX90A:TG_SPLIT: 0
	.section	.text._ZL7flatteniPi,"axG",@progbits,_ZL7flatteniPi,comdat
	.globl	_ZL7flatteniPi                  ; -- Begin function _ZL7flatteniPi
	.p2align	8
	.type	_ZL7flatteniPi,@function
_ZL7flatteniPi:                         ; @_ZL7flatteniPi
; %bb.0:
	s_load_dword s7, s[4:5], 0x0
	v_lshl_add_u32 v0, s6, 8, v0
	s_waitcnt lgkmcnt(0)
	v_cmp_gt_i32_e32 vcc, s7, v0
	s_and_saveexec_b64 s[0:1], vcc
	s_cbranch_execz .LBB10_7
; %bb.1:
	s_load_dword s6, s[4:5], 0x10
	s_load_dwordx2 s[0:1], s[4:5], 0x8
	s_mov_b64 s[2:3], 0
	s_waitcnt lgkmcnt(0)
	s_lshl_b32 s6, s6, 8
	v_mov_b32_e32 v6, s1
	s_branch .LBB10_3
.LBB10_2:                               ;   in Loop: Header=BB10_3 Depth=1
	s_or_b64 exec, exec, s[4:5]
	v_add_u32_e32 v0, s6, v0
	v_cmp_le_i32_e32 vcc, s7, v0
	s_or_b64 s[2:3], vcc, s[2:3]
	s_andn2_b64 exec, exec, s[2:3]
	s_cbranch_execz .LBB10_7
.LBB10_3:                               ; =>This Loop Header: Depth=1
                                        ;     Child Loop BB10_4 Depth 2
	v_ashrrev_i32_e32 v1, 31, v0
	v_lshlrev_b64 v[2:3], 2, v[0:1]
	v_add_co_u32_e32 v2, vcc, s0, v2
	v_addc_co_u32_e32 v3, vcc, v6, v3, vcc
	global_load_dword v1, v[2:3], off
	s_mov_b64 s[4:5], 0
	s_waitcnt vmcnt(0)
	v_mov_b32_e32 v5, v1
.LBB10_4:                               ;   Parent Loop BB10_3 Depth=1
                                        ; =>  This Inner Loop Header: Depth=2
	v_mov_b32_e32 v4, v5
	v_ashrrev_i32_e32 v5, 31, v4
	v_lshlrev_b64 v[8:9], 2, v[4:5]
	v_add_co_u32_e32 v8, vcc, s0, v8
	v_addc_co_u32_e32 v9, vcc, v6, v9, vcc
	global_load_dword v5, v[8:9], off
	s_waitcnt vmcnt(0)
	v_cmp_le_i32_e32 vcc, v4, v5
	s_or_b64 s[4:5], vcc, s[4:5]
	s_andn2_b64 exec, exec, s[4:5]
	s_cbranch_execnz .LBB10_4
; %bb.5:                                ;   in Loop: Header=BB10_3 Depth=1
	s_or_b64 exec, exec, s[4:5]
	v_cmp_ne_u32_e32 vcc, v1, v4
	s_and_saveexec_b64 s[4:5], vcc
	s_cbranch_execz .LBB10_2
; %bb.6:                                ;   in Loop: Header=BB10_3 Depth=1
	global_store_dword v[2:3], v4, off
	s_branch .LBB10_2
.LBB10_7:
	s_endpgm
	.section	.rodata,"a",@progbits
	.p2align	6, 0x0
	.amdhsa_kernel _ZL7flatteniPi
		.amdhsa_group_segment_fixed_size 0
		.amdhsa_private_segment_fixed_size 0
		.amdhsa_kernarg_size 272
		.amdhsa_user_sgpr_count 6
		.amdhsa_user_sgpr_private_segment_buffer 1
		.amdhsa_user_sgpr_dispatch_ptr 0
		.amdhsa_user_sgpr_queue_ptr 0
		.amdhsa_user_sgpr_kernarg_segment_ptr 1
		.amdhsa_user_sgpr_dispatch_id 0
		.amdhsa_user_sgpr_flat_scratch_init 0
		.amdhsa_user_sgpr_kernarg_preload_length 0
		.amdhsa_user_sgpr_kernarg_preload_offset 0
		.amdhsa_user_sgpr_private_segment_size 0
		.amdhsa_uses_dynamic_stack 0
		.amdhsa_system_sgpr_private_segment_wavefront_offset 0
		.amdhsa_system_sgpr_workgroup_id_x 1
		.amdhsa_system_sgpr_workgroup_id_y 0
		.amdhsa_system_sgpr_workgroup_id_z 0
		.amdhsa_system_sgpr_workgroup_info 0
		.amdhsa_system_vgpr_workitem_id 0
		.amdhsa_next_free_vgpr 10
		.amdhsa_next_free_sgpr 8
		.amdhsa_accum_offset 12
		.amdhsa_reserve_vcc 1
		.amdhsa_reserve_flat_scratch 0
		.amdhsa_float_round_mode_32 0
		.amdhsa_float_round_mode_16_64 0
		.amdhsa_float_denorm_mode_32 3
		.amdhsa_float_denorm_mode_16_64 3
		.amdhsa_dx10_clamp 1
		.amdhsa_ieee_mode 1
		.amdhsa_fp16_overflow 0
		.amdhsa_tg_split 0
		.amdhsa_exception_fp_ieee_invalid_op 0
		.amdhsa_exception_fp_denorm_src 0
		.amdhsa_exception_fp_ieee_div_zero 0
		.amdhsa_exception_fp_ieee_overflow 0
		.amdhsa_exception_fp_ieee_underflow 0
		.amdhsa_exception_fp_ieee_inexact 0
		.amdhsa_exception_int_div_zero 0
	.end_amdhsa_kernel
	.section	.text._ZL7flatteniPi,"axG",@progbits,_ZL7flatteniPi,comdat
.Lfunc_end10:
	.size	_ZL7flatteniPi, .Lfunc_end10-_ZL7flatteniPi
                                        ; -- End function
	.section	.AMDGPU.csdata,"",@progbits
; Kernel info:
; codeLenInByte = 216
; NumSgprs: 12
; NumVgprs: 10
; NumAgprs: 0
; TotalNumVgprs: 10
; ScratchSize: 0
; MemoryBound: 0
; FloatMode: 240
; IeeeMode: 1
; LDSByteSize: 0 bytes/workgroup (compile time only)
; SGPRBlocks: 1
; VGPRBlocks: 1
; NumSGPRsForWavesPerEU: 12
; NumVGPRsForWavesPerEU: 10
; AccumOffset: 12
; Occupancy: 8
; WaveLimiterHint : 0
; COMPUTE_PGM_RSRC2:SCRATCH_EN: 0
; COMPUTE_PGM_RSRC2:USER_SGPR: 6
; COMPUTE_PGM_RSRC2:TRAP_HANDLER: 0
; COMPUTE_PGM_RSRC2:TGID_X_EN: 1
; COMPUTE_PGM_RSRC2:TGID_Y_EN: 0
; COMPUTE_PGM_RSRC2:TGID_Z_EN: 0
; COMPUTE_PGM_RSRC2:TIDIG_COMP_CNT: 0
; COMPUTE_PGM_RSRC3_GFX90A:ACCUM_OFFSET: 2
; COMPUTE_PGM_RSRC3_GFX90A:TG_SPLIT: 0
	.section	.text._ZL6ccSizeiPKiPi,"axG",@progbits,_ZL6ccSizeiPKiPi,comdat
	.globl	_ZL6ccSizeiPKiPi                ; -- Begin function _ZL6ccSizeiPKiPi
	.p2align	8
	.type	_ZL6ccSizeiPKiPi,@function
_ZL6ccSizeiPKiPi:                       ; @_ZL6ccSizeiPKiPi
; %bb.0:
	s_load_dword s7, s[4:5], 0x18
	v_lshl_add_u32 v0, s6, 8, v0
	v_cmp_eq_u32_e32 vcc, 0, v0
	s_and_saveexec_b64 s[0:1], vcc
	s_cbranch_execz .LBB11_2
; %bb.1:
	v_mov_b32_e32 v2, 0
	v_mov_b32_e32 v3, v2
	s_getpc_b64 s[2:3]
	s_add_u32 s2, s2, _ZL2hi@rel32@lo+4
	s_addc_u32 s3, s3, _ZL2hi@rel32@hi+12
	global_store_dwordx2 v2, v[2:3], s[2:3]
	s_getpc_b64 s[2:3]
	s_add_u32 s2, s2, _ZL5wSize@rel32@lo+4
	s_addc_u32 s3, s3, _ZL5wSize@rel32@hi+12
	global_store_dword v2, v2, s[2:3]
.LBB11_2:
	s_or_b64 exec, exec, s[0:1]
	s_load_dword s10, s[4:5], 0x0
	s_waitcnt lgkmcnt(0)
	v_cmp_gt_i32_e32 vcc, s10, v0
	s_and_saveexec_b64 s[0:1], vcc
	s_cbranch_execz .LBB11_5
; %bb.3:
	s_load_dwordx4 s[0:3], s[4:5], 0x8
	s_lshl_b32 s4, s7, 8
	v_ashrrev_i32_e32 v1, 31, v0
	v_lshlrev_b64 v[2:3], 2, v[0:1]
	s_ashr_i32 s5, s4, 31
	s_waitcnt lgkmcnt(0)
	v_mov_b32_e32 v1, s1
	v_add_co_u32_e32 v2, vcc, s0, v2
	s_lshl_b64 s[6:7], s[4:5], 2
	v_addc_co_u32_e32 v3, vcc, v1, v3, vcc
	s_mov_b64 s[8:9], 0
	v_mov_b32_e32 v1, s3
	v_mov_b32_e32 v4, 1
	;; [unrolled: 1-line block ×3, first 2 shown]
.LBB11_4:                               ; =>This Inner Loop Header: Depth=1
	global_load_dword v6, v[2:3], off
	v_add_u32_e32 v0, s4, v0
	v_cmp_le_i32_e64 s[0:1], s10, v0
	s_or_b64 s[8:9], s[0:1], s[8:9]
	s_waitcnt vmcnt(0)
	v_ashrrev_i32_e32 v7, 31, v6
	v_lshlrev_b64 v[6:7], 2, v[6:7]
	v_add_co_u32_e32 v6, vcc, s2, v6
	v_addc_co_u32_e32 v7, vcc, v1, v7, vcc
	global_atomic_add v[6:7], v4, off
	v_add_co_u32_e32 v2, vcc, s6, v2
	v_addc_co_u32_e32 v3, vcc, v3, v5, vcc
	s_andn2_b64 exec, exec, s[8:9]
	s_cbranch_execnz .LBB11_4
.LBB11_5:
	s_endpgm
	.section	.rodata,"a",@progbits
	.p2align	6, 0x0
	.amdhsa_kernel _ZL6ccSizeiPKiPi
		.amdhsa_group_segment_fixed_size 0
		.amdhsa_private_segment_fixed_size 0
		.amdhsa_kernarg_size 280
		.amdhsa_user_sgpr_count 6
		.amdhsa_user_sgpr_private_segment_buffer 1
		.amdhsa_user_sgpr_dispatch_ptr 0
		.amdhsa_user_sgpr_queue_ptr 0
		.amdhsa_user_sgpr_kernarg_segment_ptr 1
		.amdhsa_user_sgpr_dispatch_id 0
		.amdhsa_user_sgpr_flat_scratch_init 0
		.amdhsa_user_sgpr_kernarg_preload_length 0
		.amdhsa_user_sgpr_kernarg_preload_offset 0
		.amdhsa_user_sgpr_private_segment_size 0
		.amdhsa_uses_dynamic_stack 0
		.amdhsa_system_sgpr_private_segment_wavefront_offset 0
		.amdhsa_system_sgpr_workgroup_id_x 1
		.amdhsa_system_sgpr_workgroup_id_y 0
		.amdhsa_system_sgpr_workgroup_id_z 0
		.amdhsa_system_sgpr_workgroup_info 0
		.amdhsa_system_vgpr_workitem_id 0
		.amdhsa_next_free_vgpr 8
		.amdhsa_next_free_sgpr 11
		.amdhsa_accum_offset 8
		.amdhsa_reserve_vcc 1
		.amdhsa_reserve_flat_scratch 0
		.amdhsa_float_round_mode_32 0
		.amdhsa_float_round_mode_16_64 0
		.amdhsa_float_denorm_mode_32 3
		.amdhsa_float_denorm_mode_16_64 3
		.amdhsa_dx10_clamp 1
		.amdhsa_ieee_mode 1
		.amdhsa_fp16_overflow 0
		.amdhsa_tg_split 0
		.amdhsa_exception_fp_ieee_invalid_op 0
		.amdhsa_exception_fp_denorm_src 0
		.amdhsa_exception_fp_ieee_div_zero 0
		.amdhsa_exception_fp_ieee_overflow 0
		.amdhsa_exception_fp_ieee_underflow 0
		.amdhsa_exception_fp_ieee_inexact 0
		.amdhsa_exception_int_div_zero 0
	.end_amdhsa_kernel
	.section	.text._ZL6ccSizeiPKiPi,"axG",@progbits,_ZL6ccSizeiPKiPi,comdat
.Lfunc_end11:
	.size	_ZL6ccSizeiPKiPi, .Lfunc_end11-_ZL6ccSizeiPKiPi
                                        ; -- End function
	.section	.AMDGPU.csdata,"",@progbits
; Kernel info:
; codeLenInByte = 260
; NumSgprs: 15
; NumVgprs: 8
; NumAgprs: 0
; TotalNumVgprs: 8
; ScratchSize: 0
; MemoryBound: 0
; FloatMode: 240
; IeeeMode: 1
; LDSByteSize: 0 bytes/workgroup (compile time only)
; SGPRBlocks: 1
; VGPRBlocks: 0
; NumSGPRsForWavesPerEU: 15
; NumVGPRsForWavesPerEU: 8
; AccumOffset: 8
; Occupancy: 8
; WaveLimiterHint : 1
; COMPUTE_PGM_RSRC2:SCRATCH_EN: 0
; COMPUTE_PGM_RSRC2:USER_SGPR: 6
; COMPUTE_PGM_RSRC2:TRAP_HANDLER: 0
; COMPUTE_PGM_RSRC2:TGID_X_EN: 1
; COMPUTE_PGM_RSRC2:TGID_Y_EN: 0
; COMPUTE_PGM_RSRC2:TGID_Z_EN: 0
; COMPUTE_PGM_RSRC2:TIDIG_COMP_CNT: 0
; COMPUTE_PGM_RSRC3_GFX90A:ACCUM_OFFSET: 1
; COMPUTE_PGM_RSRC3_GFX90A:TG_SPLIT: 0
	.section	.text._ZL9largestCCiPKi,"axG",@progbits,_ZL9largestCCiPKi,comdat
	.globl	_ZL9largestCCiPKi               ; -- Begin function _ZL9largestCCiPKi
	.p2align	8
	.type	_ZL9largestCCiPKi,@function
_ZL9largestCCiPKi:                      ; @_ZL9largestCCiPKi
; %bb.0:
	s_load_dword s10, s[4:5], 0x0
	v_lshl_add_u32 v0, s6, 8, v0
	s_waitcnt lgkmcnt(0)
	v_cmp_gt_i32_e32 vcc, s10, v0
	s_and_saveexec_b64 s[0:1], vcc
	s_cbranch_execz .LBB12_9
; %bb.1:
	s_getpc_b64 s[2:3]
	s_add_u32 s2, s2, _ZL2hi@rel32@lo+4
	s_addc_u32 s3, s3, _ZL2hi@rel32@hi+12
	s_load_dword s8, s[4:5], 0x10
	s_load_dwordx2 s[6:7], s[2:3], 0x0
	s_load_dwordx2 s[0:1], s[4:5], 0x8
	s_mov_b64 s[2:3], 0
	v_mov_b32_e32 v5, 0
	s_waitcnt lgkmcnt(0)
	s_lshl_b32 s11, s8, 8
	v_pk_mov_b32 v[2:3], s[6:7], s[6:7] op_sel:[0,1]
	v_mov_b32_e32 v4, s1
	s_branch .LBB12_4
.LBB12_2:                               ;   in Loop: Header=BB12_4 Depth=1
	s_or_b64 exec, exec, s[8:9]
.LBB12_3:                               ;   in Loop: Header=BB12_4 Depth=1
	s_or_b64 exec, exec, s[4:5]
	v_add_u32_e32 v0, s11, v0
	v_cmp_le_i32_e32 vcc, s10, v0
	s_or_b64 s[2:3], vcc, s[2:3]
	s_andn2_b64 exec, exec, s[2:3]
	s_cbranch_execz .LBB12_9
.LBB12_4:                               ; =>This Loop Header: Depth=1
                                        ;     Child Loop BB12_6 Depth 2
	v_ashrrev_i32_e32 v1, 31, v0
	v_lshlrev_b64 v[6:7], 2, v[0:1]
	v_add_co_u32_e32 v6, vcc, s0, v6
	v_addc_co_u32_e32 v7, vcc, v4, v7, vcc
	global_load_dword v6, v[6:7], off
	s_waitcnt vmcnt(0)
	v_or_b32_e32 v1, v6, v1
	v_cmp_lt_u64_e32 vcc, v[2:3], v[0:1]
	s_and_saveexec_b64 s[4:5], vcc
	s_cbranch_execz .LBB12_3
; %bb.5:                                ;   in Loop: Header=BB12_4 Depth=1
	s_mov_b64 s[8:9], exec
	s_mov_b64 s[6:7], 0
.LBB12_6:                               ;   Parent Loop BB12_4 Depth=1
                                        ; =>  This Inner Loop Header: Depth=2
	s_ff1_i32_b64 s1, s[8:9]
	v_readlane_b32 s14, v1, s1
	v_readlane_b32 s15, v0, s1
	v_mov_b32_e32 v6, s15
	v_mov_b32_e32 v7, s14
	v_cmp_gt_u64_e32 vcc, s[6:7], v[6:7]
	s_and_b64 s[12:13], vcc, exec
	s_cselect_b32 s7, s7, s14
	s_cselect_b32 s6, s6, s15
	s_lshl_b64 s[12:13], 1, s1
	s_andn2_b64 s[8:9], s[8:9], s[12:13]
	s_cmp_lg_u64 s[8:9], 0
	s_cbranch_scc1 .LBB12_6
; %bb.7:                                ;   in Loop: Header=BB12_4 Depth=1
	v_mbcnt_lo_u32_b32 v1, exec_lo, 0
	v_mbcnt_hi_u32_b32 v1, exec_hi, v1
	v_cmp_eq_u32_e32 vcc, 0, v1
	s_and_saveexec_b64 s[8:9], vcc
	s_xor_b64 s[8:9], exec, s[8:9]
	s_cbranch_execz .LBB12_2
; %bb.8:                                ;   in Loop: Header=BB12_4 Depth=1
	s_getpc_b64 s[12:13]
	s_add_u32 s12, s12, _ZL2hi@rel32@lo+4
	s_addc_u32 s13, s13, _ZL2hi@rel32@hi+12
	v_pk_mov_b32 v[2:3], s[6:7], s[6:7] op_sel:[0,1]
	global_atomic_umax_x2 v5, v[2:3], s[12:13]
	global_load_dwordx2 v[2:3], v5, s[12:13]
	s_branch .LBB12_2
.LBB12_9:
	s_endpgm
	.section	.rodata,"a",@progbits
	.p2align	6, 0x0
	.amdhsa_kernel _ZL9largestCCiPKi
		.amdhsa_group_segment_fixed_size 0
		.amdhsa_private_segment_fixed_size 0
		.amdhsa_kernarg_size 272
		.amdhsa_user_sgpr_count 6
		.amdhsa_user_sgpr_private_segment_buffer 1
		.amdhsa_user_sgpr_dispatch_ptr 0
		.amdhsa_user_sgpr_queue_ptr 0
		.amdhsa_user_sgpr_kernarg_segment_ptr 1
		.amdhsa_user_sgpr_dispatch_id 0
		.amdhsa_user_sgpr_flat_scratch_init 0
		.amdhsa_user_sgpr_kernarg_preload_length 0
		.amdhsa_user_sgpr_kernarg_preload_offset 0
		.amdhsa_user_sgpr_private_segment_size 0
		.amdhsa_uses_dynamic_stack 0
		.amdhsa_system_sgpr_private_segment_wavefront_offset 0
		.amdhsa_system_sgpr_workgroup_id_x 1
		.amdhsa_system_sgpr_workgroup_id_y 0
		.amdhsa_system_sgpr_workgroup_id_z 0
		.amdhsa_system_sgpr_workgroup_info 0
		.amdhsa_system_vgpr_workitem_id 0
		.amdhsa_next_free_vgpr 8
		.amdhsa_next_free_sgpr 16
		.amdhsa_accum_offset 8
		.amdhsa_reserve_vcc 1
		.amdhsa_reserve_flat_scratch 0
		.amdhsa_float_round_mode_32 0
		.amdhsa_float_round_mode_16_64 0
		.amdhsa_float_denorm_mode_32 3
		.amdhsa_float_denorm_mode_16_64 3
		.amdhsa_dx10_clamp 1
		.amdhsa_ieee_mode 1
		.amdhsa_fp16_overflow 0
		.amdhsa_tg_split 0
		.amdhsa_exception_fp_ieee_invalid_op 0
		.amdhsa_exception_fp_denorm_src 0
		.amdhsa_exception_fp_ieee_div_zero 0
		.amdhsa_exception_fp_ieee_overflow 0
		.amdhsa_exception_fp_ieee_underflow 0
		.amdhsa_exception_fp_ieee_inexact 0
		.amdhsa_exception_int_div_zero 0
	.end_amdhsa_kernel
	.section	.text._ZL9largestCCiPKi,"axG",@progbits,_ZL9largestCCiPKi,comdat
.Lfunc_end12:
	.size	_ZL9largestCCiPKi, .Lfunc_end12-_ZL9largestCCiPKi
                                        ; -- End function
	.section	.AMDGPU.csdata,"",@progbits
; Kernel info:
; codeLenInByte = 336
; NumSgprs: 20
; NumVgprs: 8
; NumAgprs: 0
; TotalNumVgprs: 8
; ScratchSize: 0
; MemoryBound: 0
; FloatMode: 240
; IeeeMode: 1
; LDSByteSize: 0 bytes/workgroup (compile time only)
; SGPRBlocks: 2
; VGPRBlocks: 0
; NumSGPRsForWavesPerEU: 20
; NumVGPRsForWavesPerEU: 8
; AccumOffset: 8
; Occupancy: 8
; WaveLimiterHint : 0
; COMPUTE_PGM_RSRC2:SCRATCH_EN: 0
; COMPUTE_PGM_RSRC2:USER_SGPR: 6
; COMPUTE_PGM_RSRC2:TRAP_HANDLER: 0
; COMPUTE_PGM_RSRC2:TGID_X_EN: 1
; COMPUTE_PGM_RSRC2:TGID_Y_EN: 0
; COMPUTE_PGM_RSRC2:TGID_Z_EN: 0
; COMPUTE_PGM_RSRC2:TIDIG_COMP_CNT: 0
; COMPUTE_PGM_RSRC3_GFX90A:ACCUM_OFFSET: 1
; COMPUTE_PGM_RSRC3_GFX90A:TG_SPLIT: 0
	.section	.text._ZL10ccHopCountiPKiS0_S0_PiS1_S1_,"axG",@progbits,_ZL10ccHopCountiPKiS0_S0_PiS1_S1_,comdat
	.globl	_ZL10ccHopCountiPKiS0_S0_PiS1_S1_ ; -- Begin function _ZL10ccHopCountiPKiS0_S0_PiS1_S1_
	.p2align	8
	.type	_ZL10ccHopCountiPKiS0_S0_PiS1_S1_,@function
_ZL10ccHopCountiPKiS0_S0_PiS1_S1_:      ; @_ZL10ccHopCountiPKiS0_S0_PiS1_S1_
; %bb.0:
	s_load_dword s24, s[4:5], 0x0
	v_lshl_add_u32 v1, s6, 8, v0
	v_lshrrev_b32_e32 v2, 6, v1
	s_waitcnt lgkmcnt(0)
	v_cmp_gt_i32_e32 vcc, s24, v2
	s_and_saveexec_b64 s[0:1], vcc
	s_cbranch_execz .LBB13_12
; %bb.1:
	s_load_dword s2, s[4:5], 0x38
	s_load_dwordx4 s[16:19], s[4:5], 0x28
	s_load_dwordx8 s[8:15], s[4:5], 0x8
	s_getpc_b64 s[0:1]
	s_add_u32 s0, s0, _ZL2hi@rel32@lo+4
	s_addc_u32 s1, s1, _ZL2hi@rel32@hi+12
	s_load_dword s26, s[0:1], 0x0
	s_waitcnt lgkmcnt(0)
	s_lshl_b32 s2, s2, 2
	v_and_b32_e32 v0, 63, v0
	s_and_b32 s25, s2, 0x3fffffc
	v_mov_b32_e32 v3, 0
	s_mov_b64 s[2:3], 0
	v_mov_b32_e32 v1, s13
	v_mov_b32_e32 v8, s9
	;; [unrolled: 1-line block ×3, first 2 shown]
	s_branch .LBB13_3
.LBB13_2:                               ;   in Loop: Header=BB13_3 Depth=1
	s_or_b64 exec, exec, s[4:5]
	v_add_u32_e32 v2, s25, v2
	v_cmp_le_i32_e32 vcc, s24, v2
	s_or_b64 s[2:3], vcc, s[2:3]
	s_andn2_b64 exec, exec, s[2:3]
	s_cbranch_execz .LBB13_12
.LBB13_3:                               ; =>This Loop Header: Depth=1
                                        ;     Child Loop BB13_9 Depth 2
	v_lshlrev_b64 v[4:5], 2, v[2:3]
	v_add_co_u32_e32 v6, vcc, s12, v4
	v_addc_co_u32_e32 v7, vcc, v1, v5, vcc
	global_load_dword v10, v[6:7], off
	s_waitcnt vmcnt(0)
	v_cmp_eq_u32_e32 vcc, v10, v2
	s_and_saveexec_b64 s[0:1], vcc
	s_cbranch_execz .LBB13_5
; %bb.4:                                ;   in Loop: Header=BB13_3 Depth=1
	v_mov_b32_e32 v7, s15
	v_add_co_u32_e32 v6, vcc, s14, v4
	v_addc_co_u32_e32 v7, vcc, v7, v5, vcc
	v_cmp_eq_u32_e32 vcc, s26, v2
	v_cndmask_b32_e64 v11, v9, 0, vcc
	global_store_dword v[6:7], v11, off
.LBB13_5:                               ;   in Loop: Header=BB13_3 Depth=1
	s_or_b64 exec, exec, s[0:1]
	v_add_co_u32_e32 v4, vcc, s8, v4
	v_addc_co_u32_e32 v5, vcc, v8, v5, vcc
	global_load_dwordx2 v[4:5], v[4:5], off
	s_waitcnt vmcnt(0)
	v_add_u32_e32 v11, v4, v0
	v_cmp_lt_i32_e32 vcc, v11, v5
	s_and_saveexec_b64 s[4:5], vcc
	s_cbranch_execz .LBB13_2
; %bb.6:                                ;   in Loop: Header=BB13_3 Depth=1
	v_ashrrev_i32_e32 v7, 31, v4
	v_add_co_u32_e32 v6, vcc, v0, v4
	v_addc_co_u32_e32 v7, vcc, 0, v7, vcc
	v_lshlrev_b64 v[6:7], 2, v[6:7]
	v_mov_b32_e32 v4, s11
	v_add_co_u32_e32 v6, vcc, s10, v6
	v_addc_co_u32_e32 v7, vcc, v4, v7, vcc
	s_mov_b64 s[6:7], 0
	s_branch .LBB13_9
.LBB13_7:                               ;   in Loop: Header=BB13_9 Depth=2
	s_or_b64 exec, exec, s[20:21]
	s_waitcnt vmcnt(0)
	v_readfirstlane_b32 s9, v13
	v_add_u32_e32 v12, s9, v12
	v_ashrrev_i32_e32 v13, 31, v12
	v_lshlrev_b64 v[12:13], 2, v[12:13]
	v_mov_b32_e32 v15, s17
	v_add_co_u32_e32 v14, vcc, s16, v12
	v_addc_co_u32_e32 v15, vcc, v15, v13, vcc
	global_store_dword v[14:15], v10, off
	v_mov_b32_e32 v14, s19
	v_add_co_u32_e32 v12, vcc, s18, v12
	v_addc_co_u32_e32 v13, vcc, v14, v13, vcc
	global_store_dword v[12:13], v4, off
.LBB13_8:                               ;   in Loop: Header=BB13_9 Depth=2
	s_or_b64 exec, exec, s[0:1]
	v_add_u32_e32 v11, 64, v11
	v_add_co_u32_e32 v6, vcc, 0x100, v6
	v_cmp_ge_i32_e64 s[0:1], v11, v5
	s_or_b64 s[6:7], s[0:1], s[6:7]
	v_addc_co_u32_e32 v7, vcc, 0, v7, vcc
	s_andn2_b64 exec, exec, s[6:7]
	s_cbranch_execz .LBB13_2
.LBB13_9:                               ;   Parent Loop BB13_3 Depth=1
                                        ; =>  This Inner Loop Header: Depth=2
	global_load_dword v4, v[6:7], off
	s_waitcnt vmcnt(0)
	v_ashrrev_i32_e32 v12, 1, v4
	v_ashrrev_i32_e32 v13, 31, v12
	v_lshlrev_b64 v[12:13], 2, v[12:13]
	v_add_co_u32_e32 v12, vcc, s12, v12
	v_addc_co_u32_e32 v13, vcc, v1, v13, vcc
	global_load_dword v4, v[12:13], off
	s_waitcnt vmcnt(0)
	v_cmp_lt_i32_e32 vcc, v10, v4
	s_and_saveexec_b64 s[0:1], vcc
	s_cbranch_execz .LBB13_8
; %bb.10:                               ;   in Loop: Header=BB13_9 Depth=2
	s_mov_b64 s[22:23], exec
	v_mbcnt_lo_u32_b32 v12, s22, 0
	v_mbcnt_hi_u32_b32 v12, s23, v12
	v_cmp_eq_u32_e32 vcc, 0, v12
                                        ; implicit-def: $vgpr13
	s_and_saveexec_b64 s[20:21], vcc
	s_cbranch_execz .LBB13_7
; %bb.11:                               ;   in Loop: Header=BB13_9 Depth=2
	s_bcnt1_i32_b64 s9, s[22:23]
	s_getpc_b64 s[22:23]
	s_add_u32 s22, s22, _ZL5wSize@rel32@lo+4
	s_addc_u32 s23, s23, _ZL5wSize@rel32@hi+12
	v_mov_b32_e32 v13, s9
	global_atomic_add v13, v3, v13, s[22:23] glc
	s_branch .LBB13_7
.LBB13_12:
	s_endpgm
	.section	.rodata,"a",@progbits
	.p2align	6, 0x0
	.amdhsa_kernel _ZL10ccHopCountiPKiS0_S0_PiS1_S1_
		.amdhsa_group_segment_fixed_size 0
		.amdhsa_private_segment_fixed_size 0
		.amdhsa_kernarg_size 312
		.amdhsa_user_sgpr_count 6
		.amdhsa_user_sgpr_private_segment_buffer 1
		.amdhsa_user_sgpr_dispatch_ptr 0
		.amdhsa_user_sgpr_queue_ptr 0
		.amdhsa_user_sgpr_kernarg_segment_ptr 1
		.amdhsa_user_sgpr_dispatch_id 0
		.amdhsa_user_sgpr_flat_scratch_init 0
		.amdhsa_user_sgpr_kernarg_preload_length 0
		.amdhsa_user_sgpr_kernarg_preload_offset 0
		.amdhsa_user_sgpr_private_segment_size 0
		.amdhsa_uses_dynamic_stack 0
		.amdhsa_system_sgpr_private_segment_wavefront_offset 0
		.amdhsa_system_sgpr_workgroup_id_x 1
		.amdhsa_system_sgpr_workgroup_id_y 0
		.amdhsa_system_sgpr_workgroup_id_z 0
		.amdhsa_system_sgpr_workgroup_info 0
		.amdhsa_system_vgpr_workitem_id 0
		.amdhsa_next_free_vgpr 16
		.amdhsa_next_free_sgpr 27
		.amdhsa_accum_offset 16
		.amdhsa_reserve_vcc 1
		.amdhsa_reserve_flat_scratch 0
		.amdhsa_float_round_mode_32 0
		.amdhsa_float_round_mode_16_64 0
		.amdhsa_float_denorm_mode_32 3
		.amdhsa_float_denorm_mode_16_64 3
		.amdhsa_dx10_clamp 1
		.amdhsa_ieee_mode 1
		.amdhsa_fp16_overflow 0
		.amdhsa_tg_split 0
		.amdhsa_exception_fp_ieee_invalid_op 0
		.amdhsa_exception_fp_denorm_src 0
		.amdhsa_exception_fp_ieee_div_zero 0
		.amdhsa_exception_fp_ieee_overflow 0
		.amdhsa_exception_fp_ieee_underflow 0
		.amdhsa_exception_fp_ieee_inexact 0
		.amdhsa_exception_int_div_zero 0
	.end_amdhsa_kernel
	.section	.text._ZL10ccHopCountiPKiS0_S0_PiS1_S1_,"axG",@progbits,_ZL10ccHopCountiPKiS0_S0_PiS1_S1_,comdat
.Lfunc_end13:
	.size	_ZL10ccHopCountiPKiS0_S0_PiS1_S1_, .Lfunc_end13-_ZL10ccHopCountiPKiS0_S0_PiS1_S1_
                                        ; -- End function
	.section	.AMDGPU.csdata,"",@progbits
; Kernel info:
; codeLenInByte = 556
; NumSgprs: 31
; NumVgprs: 16
; NumAgprs: 0
; TotalNumVgprs: 16
; ScratchSize: 0
; MemoryBound: 0
; FloatMode: 240
; IeeeMode: 1
; LDSByteSize: 0 bytes/workgroup (compile time only)
; SGPRBlocks: 3
; VGPRBlocks: 1
; NumSGPRsForWavesPerEU: 31
; NumVGPRsForWavesPerEU: 16
; AccumOffset: 16
; Occupancy: 8
; WaveLimiterHint : 1
; COMPUTE_PGM_RSRC2:SCRATCH_EN: 0
; COMPUTE_PGM_RSRC2:USER_SGPR: 6
; COMPUTE_PGM_RSRC2:TRAP_HANDLER: 0
; COMPUTE_PGM_RSRC2:TGID_X_EN: 1
; COMPUTE_PGM_RSRC2:TGID_Y_EN: 0
; COMPUTE_PGM_RSRC2:TGID_Z_EN: 0
; COMPUTE_PGM_RSRC2:TIDIG_COMP_CNT: 0
; COMPUTE_PGM_RSRC3_GFX90A:ACCUM_OFFSET: 3
; COMPUTE_PGM_RSRC3_GFX90A:TG_SPLIT: 0
	.section	.text._ZL11BellmanFordPiPbPKiS2_,"axG",@progbits,_ZL11BellmanFordPiPbPKiS2_,comdat
	.globl	_ZL11BellmanFordPiPbPKiS2_      ; -- Begin function _ZL11BellmanFordPiPbPKiS2_
	.p2align	8
	.type	_ZL11BellmanFordPiPbPKiS2_,@function
_ZL11BellmanFordPiPbPKiS2_:             ; @_ZL11BellmanFordPiPbPKiS2_
; %bb.0:
	s_getpc_b64 s[0:1]
	s_add_u32 s0, s0, _ZL5wSize@rel32@lo+4
	s_addc_u32 s1, s1, _ZL5wSize@rel32@hi+12
	s_load_dword s20, s[0:1], 0x0
	v_lshl_add_u32 v0, s6, 8, v0
	s_waitcnt lgkmcnt(0)
	v_cmp_gt_i32_e32 vcc, s20, v0
	s_and_saveexec_b64 s[0:1], vcc
	s_cbranch_execz .LBB14_11
; %bb.1:
	s_load_dword s2, s[4:5], 0x20
	s_load_dwordx8 s[8:15], s[4:5], 0x0
	v_ashrrev_i32_e32 v1, 31, v0
	s_mov_b64 s[0:1], 0
	v_lshlrev_b64 v[2:3], 2, v[0:1]
	s_waitcnt lgkmcnt(0)
	s_lshl_b32 s2, s2, 8
	s_ashr_i32 s3, s2, 31
	s_lshl_b64 s[4:5], s[2:3], 2
	v_mov_b32_e32 v1, s13
	v_mov_b32_e32 v8, s15
	;; [unrolled: 1-line block ×6, first 2 shown]
	s_branch .LBB14_3
.LBB14_2:                               ;   in Loop: Header=BB14_3 Depth=1
	s_or_b64 exec, exec, s[16:17]
	v_add_u32_e32 v0, s2, v0
	v_cmp_le_i32_e32 vcc, s20, v0
	s_or_b64 s[0:1], vcc, s[0:1]
	v_add_co_u32_e32 v2, vcc, s4, v2
	v_addc_co_u32_e32 v3, vcc, v3, v11, vcc
	s_andn2_b64 exec, exec, s[0:1]
	s_cbranch_execz .LBB14_11
.LBB14_3:                               ; =>This Inner Loop Header: Depth=1
	v_add_co_u32_e32 v4, vcc, s12, v2
	v_addc_co_u32_e32 v5, vcc, v1, v3, vcc
	global_load_dword v4, v[4:5], off
	v_add_co_u32_e32 v6, vcc, s14, v2
	v_addc_co_u32_e32 v7, vcc, v8, v3, vcc
	global_load_dword v6, v[6:7], off
	s_mov_b64 s[6:7], 0
	s_waitcnt vmcnt(1)
	v_ashrrev_i32_e32 v5, 31, v4
	v_lshlrev_b64 v[4:5], 2, v[4:5]
	v_add_co_u32_e32 v4, vcc, s8, v4
	v_addc_co_u32_e32 v5, vcc, v9, v5, vcc
	s_waitcnt vmcnt(0)
	v_ashrrev_i32_e32 v7, 31, v6
	v_lshlrev_b64 v[6:7], 2, v[6:7]
	v_add_co_u32_e32 v6, vcc, s8, v6
	v_addc_co_u32_e32 v7, vcc, v9, v7, vcc
	global_load_dword v14, v[4:5], off
	global_load_dword v15, v[6:7], off
	s_waitcnt vmcnt(1)
	v_add_u32_e32 v13, 1, v14
	s_waitcnt vmcnt(0)
	v_cmp_ge_i32_e32 vcc, v13, v15
	s_and_saveexec_b64 s[16:17], vcc
	s_xor_b64 s[16:17], exec, s[16:17]
	s_cbranch_execnz .LBB14_6
; %bb.4:                                ;   in Loop: Header=BB14_3 Depth=1
	s_andn2_saveexec_b64 s[16:17], s[16:17]
	s_cbranch_execnz .LBB14_9
.LBB14_5:                               ;   in Loop: Header=BB14_3 Depth=1
	s_or_b64 exec, exec, s[16:17]
	s_and_saveexec_b64 s[16:17], s[6:7]
	s_cbranch_execz .LBB14_2
	s_branch .LBB14_10
.LBB14_6:                               ;   in Loop: Header=BB14_3 Depth=1
	v_add_u32_e32 v6, 1, v15
	v_cmp_lt_i32_e32 vcc, v6, v14
	s_and_saveexec_b64 s[18:19], vcc
	s_xor_b64 s[18:19], exec, s[18:19]
	s_cbranch_execz .LBB14_8
; %bb.7:                                ;   in Loop: Header=BB14_3 Depth=1
	s_mov_b64 s[6:7], exec
	global_store_dword v[4:5], v6, off
.LBB14_8:                               ;   in Loop: Header=BB14_3 Depth=1
	s_or_b64 exec, exec, s[18:19]
	s_and_b64 s[6:7], s[6:7], exec
                                        ; implicit-def: $vgpr6_vgpr7
                                        ; implicit-def: $vgpr13
	s_andn2_saveexec_b64 s[16:17], s[16:17]
	s_cbranch_execz .LBB14_5
.LBB14_9:                               ;   in Loop: Header=BB14_3 Depth=1
	s_or_b64 s[6:7], s[6:7], exec
	global_store_dword v[6:7], v13, off
	s_or_b64 exec, exec, s[16:17]
	s_and_saveexec_b64 s[16:17], s[6:7]
	s_cbranch_execz .LBB14_2
.LBB14_10:                              ;   in Loop: Header=BB14_3 Depth=1
	global_store_byte v10, v12, s[10:11]
	s_branch .LBB14_2
.LBB14_11:
	s_endpgm
	.section	.rodata,"a",@progbits
	.p2align	6, 0x0
	.amdhsa_kernel _ZL11BellmanFordPiPbPKiS2_
		.amdhsa_group_segment_fixed_size 0
		.amdhsa_private_segment_fixed_size 0
		.amdhsa_kernarg_size 288
		.amdhsa_user_sgpr_count 6
		.amdhsa_user_sgpr_private_segment_buffer 1
		.amdhsa_user_sgpr_dispatch_ptr 0
		.amdhsa_user_sgpr_queue_ptr 0
		.amdhsa_user_sgpr_kernarg_segment_ptr 1
		.amdhsa_user_sgpr_dispatch_id 0
		.amdhsa_user_sgpr_flat_scratch_init 0
		.amdhsa_user_sgpr_kernarg_preload_length 0
		.amdhsa_user_sgpr_kernarg_preload_offset 0
		.amdhsa_user_sgpr_private_segment_size 0
		.amdhsa_uses_dynamic_stack 0
		.amdhsa_system_sgpr_private_segment_wavefront_offset 0
		.amdhsa_system_sgpr_workgroup_id_x 1
		.amdhsa_system_sgpr_workgroup_id_y 0
		.amdhsa_system_sgpr_workgroup_id_z 0
		.amdhsa_system_sgpr_workgroup_info 0
		.amdhsa_system_vgpr_workitem_id 0
		.amdhsa_next_free_vgpr 16
		.amdhsa_next_free_sgpr 21
		.amdhsa_accum_offset 16
		.amdhsa_reserve_vcc 1
		.amdhsa_reserve_flat_scratch 0
		.amdhsa_float_round_mode_32 0
		.amdhsa_float_round_mode_16_64 0
		.amdhsa_float_denorm_mode_32 3
		.amdhsa_float_denorm_mode_16_64 3
		.amdhsa_dx10_clamp 1
		.amdhsa_ieee_mode 1
		.amdhsa_fp16_overflow 0
		.amdhsa_tg_split 0
		.amdhsa_exception_fp_ieee_invalid_op 0
		.amdhsa_exception_fp_denorm_src 0
		.amdhsa_exception_fp_ieee_div_zero 0
		.amdhsa_exception_fp_ieee_overflow 0
		.amdhsa_exception_fp_ieee_underflow 0
		.amdhsa_exception_fp_ieee_inexact 0
		.amdhsa_exception_int_div_zero 0
	.end_amdhsa_kernel
	.section	.text._ZL11BellmanFordPiPbPKiS2_,"axG",@progbits,_ZL11BellmanFordPiPbPKiS2_,comdat
.Lfunc_end14:
	.size	_ZL11BellmanFordPiPbPKiS2_, .Lfunc_end14-_ZL11BellmanFordPiPbPKiS2_
                                        ; -- End function
	.section	.AMDGPU.csdata,"",@progbits
; Kernel info:
; codeLenInByte = 400
; NumSgprs: 25
; NumVgprs: 16
; NumAgprs: 0
; TotalNumVgprs: 16
; ScratchSize: 0
; MemoryBound: 0
; FloatMode: 240
; IeeeMode: 1
; LDSByteSize: 0 bytes/workgroup (compile time only)
; SGPRBlocks: 3
; VGPRBlocks: 1
; NumSGPRsForWavesPerEU: 25
; NumVGPRsForWavesPerEU: 16
; AccumOffset: 16
; Occupancy: 8
; WaveLimiterHint : 1
; COMPUTE_PGM_RSRC2:SCRATCH_EN: 0
; COMPUTE_PGM_RSRC2:USER_SGPR: 6
; COMPUTE_PGM_RSRC2:TRAP_HANDLER: 0
; COMPUTE_PGM_RSRC2:TGID_X_EN: 1
; COMPUTE_PGM_RSRC2:TGID_Y_EN: 0
; COMPUTE_PGM_RSRC2:TGID_Z_EN: 0
; COMPUTE_PGM_RSRC2:TIDIG_COMP_CNT: 0
; COMPUTE_PGM_RSRC3_GFX90A:ACCUM_OFFSET: 3
; COMPUTE_PGM_RSRC3_GFX90A:TG_SPLIT: 0
	.section	.text._ZL11incrementCCiPKiS0_Pi,"axG",@progbits,_ZL11incrementCCiPKiS0_Pi,comdat
	.globl	_ZL11incrementCCiPKiS0_Pi       ; -- Begin function _ZL11incrementCCiPKiS0_Pi
	.p2align	8
	.type	_ZL11incrementCCiPKiS0_Pi,@function
_ZL11incrementCCiPKiS0_Pi:              ; @_ZL11incrementCCiPKiS0_Pi
; %bb.0:
	s_load_dword s12, s[4:5], 0x0
	v_lshl_add_u32 v0, s6, 8, v0
	s_waitcnt lgkmcnt(0)
	v_cmp_gt_i32_e32 vcc, s12, v0
	s_and_saveexec_b64 s[0:1], vcc
	s_cbranch_execz .LBB15_3
; %bb.1:
	s_load_dword s8, s[4:5], 0x20
	s_load_dwordx4 s[0:3], s[4:5], 0x8
	s_load_dwordx2 s[6:7], s[4:5], 0x18
	v_ashrrev_i32_e32 v1, 31, v0
	v_lshlrev_b64 v[2:3], 2, v[0:1]
	s_waitcnt lgkmcnt(0)
	s_lshl_b32 s4, s8, 8
	s_ashr_i32 s5, s4, 31
	s_lshl_b64 s[8:9], s[4:5], 2
	s_mov_b64 s[10:11], 0
	v_mov_b32_e32 v1, s1
	v_mov_b32_e32 v4, s3
	;; [unrolled: 1-line block ×4, first 2 shown]
.LBB15_2:                               ; =>This Inner Loop Header: Depth=1
	v_add_co_u32_e32 v8, vcc, s0, v2
	v_addc_co_u32_e32 v9, vcc, v1, v3, vcc
	global_load_dword v8, v[8:9], off
	v_add_u32_e32 v0, s4, v0
	s_waitcnt vmcnt(0)
	v_ashrrev_i32_e32 v9, 31, v8
	v_lshlrev_b64 v[8:9], 2, v[8:9]
	v_add_co_u32_e32 v8, vcc, s2, v8
	v_addc_co_u32_e32 v9, vcc, v4, v9, vcc
	global_load_dword v7, v[8:9], off
	v_add_co_u32_e32 v8, vcc, s6, v2
	v_addc_co_u32_e32 v9, vcc, v5, v3, vcc
	global_load_dword v10, v[8:9], off
	v_add_co_u32_e32 v2, vcc, s8, v2
	v_addc_co_u32_e32 v3, vcc, v3, v6, vcc
	v_cmp_le_i32_e32 vcc, s12, v0
	s_or_b64 s[10:11], vcc, s[10:11]
	s_waitcnt vmcnt(1)
	v_lshrrev_b32_e32 v11, 31, v7
	v_add_u32_e32 v11, v7, v11
	v_and_b32_e32 v11, -2, v11
	v_sub_u32_e32 v7, v7, v11
	s_waitcnt vmcnt(0)
	v_xad_u32 v7, v7, 1, v10
	global_store_dword v[8:9], v7, off
	s_andn2_b64 exec, exec, s[10:11]
	s_cbranch_execnz .LBB15_2
.LBB15_3:
	s_endpgm
	.section	.rodata,"a",@progbits
	.p2align	6, 0x0
	.amdhsa_kernel _ZL11incrementCCiPKiS0_Pi
		.amdhsa_group_segment_fixed_size 0
		.amdhsa_private_segment_fixed_size 0
		.amdhsa_kernarg_size 288
		.amdhsa_user_sgpr_count 6
		.amdhsa_user_sgpr_private_segment_buffer 1
		.amdhsa_user_sgpr_dispatch_ptr 0
		.amdhsa_user_sgpr_queue_ptr 0
		.amdhsa_user_sgpr_kernarg_segment_ptr 1
		.amdhsa_user_sgpr_dispatch_id 0
		.amdhsa_user_sgpr_flat_scratch_init 0
		.amdhsa_user_sgpr_kernarg_preload_length 0
		.amdhsa_user_sgpr_kernarg_preload_offset 0
		.amdhsa_user_sgpr_private_segment_size 0
		.amdhsa_uses_dynamic_stack 0
		.amdhsa_system_sgpr_private_segment_wavefront_offset 0
		.amdhsa_system_sgpr_workgroup_id_x 1
		.amdhsa_system_sgpr_workgroup_id_y 0
		.amdhsa_system_sgpr_workgroup_id_z 0
		.amdhsa_system_sgpr_workgroup_info 0
		.amdhsa_system_vgpr_workitem_id 0
		.amdhsa_next_free_vgpr 12
		.amdhsa_next_free_sgpr 13
		.amdhsa_accum_offset 12
		.amdhsa_reserve_vcc 1
		.amdhsa_reserve_flat_scratch 0
		.amdhsa_float_round_mode_32 0
		.amdhsa_float_round_mode_16_64 0
		.amdhsa_float_denorm_mode_32 3
		.amdhsa_float_denorm_mode_16_64 3
		.amdhsa_dx10_clamp 1
		.amdhsa_ieee_mode 1
		.amdhsa_fp16_overflow 0
		.amdhsa_tg_split 0
		.amdhsa_exception_fp_ieee_invalid_op 0
		.amdhsa_exception_fp_denorm_src 0
		.amdhsa_exception_fp_ieee_div_zero 0
		.amdhsa_exception_fp_ieee_overflow 0
		.amdhsa_exception_fp_ieee_underflow 0
		.amdhsa_exception_fp_ieee_inexact 0
		.amdhsa_exception_int_div_zero 0
	.end_amdhsa_kernel
	.section	.text._ZL11incrementCCiPKiS0_Pi,"axG",@progbits,_ZL11incrementCCiPKiS0_Pi,comdat
.Lfunc_end15:
	.size	_ZL11incrementCCiPKiS0_Pi, .Lfunc_end15-_ZL11incrementCCiPKiS0_Pi
                                        ; -- End function
	.section	.AMDGPU.csdata,"",@progbits
; Kernel info:
; codeLenInByte = 240
; NumSgprs: 17
; NumVgprs: 12
; NumAgprs: 0
; TotalNumVgprs: 12
; ScratchSize: 0
; MemoryBound: 0
; FloatMode: 240
; IeeeMode: 1
; LDSByteSize: 0 bytes/workgroup (compile time only)
; SGPRBlocks: 2
; VGPRBlocks: 1
; NumSGPRsForWavesPerEU: 17
; NumVGPRsForWavesPerEU: 12
; AccumOffset: 12
; Occupancy: 8
; WaveLimiterHint : 1
; COMPUTE_PGM_RSRC2:SCRATCH_EN: 0
; COMPUTE_PGM_RSRC2:USER_SGPR: 6
; COMPUTE_PGM_RSRC2:TRAP_HANDLER: 0
; COMPUTE_PGM_RSRC2:TGID_X_EN: 1
; COMPUTE_PGM_RSRC2:TGID_Y_EN: 0
; COMPUTE_PGM_RSRC2:TGID_Z_EN: 0
; COMPUTE_PGM_RSRC2:TIDIG_COMP_CNT: 0
; COMPUTE_PGM_RSRC3_GFX90A:ACCUM_OFFSET: 2
; COMPUTE_PGM_RSRC3_GFX90A:TG_SPLIT: 0
	.text
	.p2alignl 6, 3212836864
	.fill 256, 4, 3212836864
	.type	_ZL2hi,@object                  ; @_ZL2hi
	.local	_ZL2hi
	.comm	_ZL2hi,8,3
	.type	_ZL5wSize,@object               ; @_ZL5wSize
	.local	_ZL5wSize
	.comm	_ZL5wSize,4,2
	.type	__hip_cuid_3009b96f00ecce0d,@object ; @__hip_cuid_3009b96f00ecce0d
	.section	.bss,"aw",@nobits
	.globl	__hip_cuid_3009b96f00ecce0d
__hip_cuid_3009b96f00ecce0d:
	.byte	0                               ; 0x0
	.size	__hip_cuid_3009b96f00ecce0d, 1

	.ident	"AMD clang version 19.0.0git (https://github.com/RadeonOpenCompute/llvm-project roc-6.4.0 25133 c7fe45cf4b819c5991fe208aaa96edf142730f1d)"
	.section	".note.GNU-stack","",@progbits
	.addrsig
	.addrsig_sym _ZL2hi
	.addrsig_sym _ZL5wSize
	.addrsig_sym __hip_cuid_3009b96f00ecce0d
	.amdgpu_metadata
---
amdhsa.kernels:
  - .agpr_count:     0
    .args:
      - .offset:         0
        .size:           4
        .value_kind:     by_value
      - .offset:         4
        .size:           4
        .value_kind:     by_value
      - .address_space:  global
        .offset:         8
        .size:           8
        .value_kind:     global_buffer
      - .address_space:  global
        .offset:         16
        .size:           8
        .value_kind:     global_buffer
      - .address_space:  global
        .offset:         24
        .size:           8
        .value_kind:     global_buffer
      - .address_space:  global
        .offset:         32
        .size:           8
        .value_kind:     global_buffer
      - .address_space:  global
        .offset:         40
        .size:           8
        .value_kind:     global_buffer
      - .address_space:  global
        .offset:         48
        .size:           8
        .value_kind:     global_buffer
      - .offset:         56
        .size:           4
        .value_kind:     hidden_block_count_x
      - .offset:         60
        .size:           4
        .value_kind:     hidden_block_count_y
      - .offset:         64
        .size:           4
        .value_kind:     hidden_block_count_z
      - .offset:         68
        .size:           2
        .value_kind:     hidden_group_size_x
      - .offset:         70
        .size:           2
        .value_kind:     hidden_group_size_y
      - .offset:         72
        .size:           2
        .value_kind:     hidden_group_size_z
      - .offset:         74
        .size:           2
        .value_kind:     hidden_remainder_x
      - .offset:         76
        .size:           2
        .value_kind:     hidden_remainder_y
      - .offset:         78
        .size:           2
        .value_kind:     hidden_remainder_z
      - .offset:         96
        .size:           8
        .value_kind:     hidden_global_offset_x
      - .offset:         104
        .size:           8
        .value_kind:     hidden_global_offset_y
      - .offset:         112
        .size:           8
        .value_kind:     hidden_global_offset_z
      - .offset:         120
        .size:           2
        .value_kind:     hidden_grid_dims
    .group_segment_fixed_size: 0
    .kernarg_segment_align: 8
    .kernarg_segment_size: 312
    .language:       OpenCL C
    .language_version:
      - 2
      - 0
    .max_flat_workgroup_size: 1024
    .name:           _ZL4initiiPiS_S_P8EdgeInfoS_S_
    .private_segment_fixed_size: 0
    .sgpr_count:     29
    .sgpr_spill_count: 0
    .symbol:         _ZL4initiiPiS_S_P8EdgeInfoS_S_.kd
    .uniform_work_group_size: 1
    .uses_dynamic_stack: false
    .vgpr_count:     14
    .vgpr_spill_count: 0
    .wavefront_size: 64
  - .agpr_count:     0
    .args:
      - .offset:         0
        .size:           4
        .value_kind:     by_value
      - .offset:         4
        .size:           4
        .value_kind:     by_value
      - .offset:         8
        .size:           4
        .value_kind:     by_value
      - .address_space:  global
        .offset:         16
        .size:           8
        .value_kind:     global_buffer
      - .address_space:  global
        .offset:         24
        .size:           8
        .value_kind:     global_buffer
      - .address_space:  global
        .offset:         32
        .size:           8
        .value_kind:     global_buffer
      - .address_space:  global
        .offset:         40
        .size:           8
        .value_kind:     global_buffer
      - .address_space:  global
        .offset:         48
        .size:           8
        .value_kind:     global_buffer
      - .offset:         56
        .size:           4
        .value_kind:     hidden_block_count_x
      - .offset:         60
        .size:           4
        .value_kind:     hidden_block_count_y
      - .offset:         64
        .size:           4
        .value_kind:     hidden_block_count_z
      - .offset:         68
        .size:           2
        .value_kind:     hidden_group_size_x
      - .offset:         70
        .size:           2
        .value_kind:     hidden_group_size_y
      - .offset:         72
        .size:           2
        .value_kind:     hidden_group_size_z
      - .offset:         74
        .size:           2
        .value_kind:     hidden_remainder_x
      - .offset:         76
        .size:           2
        .value_kind:     hidden_remainder_y
      - .offset:         78
        .size:           2
        .value_kind:     hidden_remainder_z
      - .offset:         96
        .size:           8
        .value_kind:     hidden_global_offset_x
      - .offset:         104
        .size:           8
        .value_kind:     hidden_global_offset_y
      - .offset:         112
        .size:           8
        .value_kind:     hidden_global_offset_z
      - .offset:         120
        .size:           2
        .value_kind:     hidden_grid_dims
    .group_segment_fixed_size: 0
    .kernarg_segment_align: 8
    .kernarg_segment_size: 312
    .language:       OpenCL C
    .language_version:
      - 2
      - 0
    .max_flat_workgroup_size: 1024
    .name:           _ZL5init2iiiPiS_S_S_S_
    .private_segment_fixed_size: 0
    .sgpr_count:     29
    .sgpr_spill_count: 0
    .symbol:         _ZL5init2iiiPiS_S_S_S_.kd
    .uniform_work_group_size: 1
    .uses_dynamic_stack: false
    .vgpr_count:     16
    .vgpr_spill_count: 0
    .wavefront_size: 64
  - .agpr_count:     0
    .args:
      - .offset:         0
        .size:           4
        .value_kind:     by_value
      - .actual_access:  read_only
        .address_space:  global
        .offset:         8
        .size:           8
        .value_kind:     global_buffer
      - .actual_access:  read_only
        .address_space:  global
        .offset:         16
        .size:           8
        .value_kind:     global_buffer
      - .offset:         24
        .size:           4
        .value_kind:     by_value
      - .address_space:  global
        .offset:         32
        .size:           8
        .value_kind:     global_buffer
      - .address_space:  global
        .offset:         40
        .size:           8
        .value_kind:     global_buffer
      - .address_space:  global
        .offset:         48
        .size:           8
        .value_kind:     global_buffer
      - .offset:         56
        .size:           4
        .value_kind:     by_value
      - .address_space:  global
        .offset:         64
        .size:           8
        .value_kind:     global_buffer
      - .offset:         72
        .size:           4
        .value_kind:     by_value
      - .offset:         76
        .size:           4
        .value_kind:     by_value
      - .offset:         80
        .size:           4
        .value_kind:     hidden_block_count_x
      - .offset:         84
        .size:           4
        .value_kind:     hidden_block_count_y
      - .offset:         88
        .size:           4
        .value_kind:     hidden_block_count_z
      - .offset:         92
        .size:           2
        .value_kind:     hidden_group_size_x
      - .offset:         94
        .size:           2
        .value_kind:     hidden_group_size_y
      - .offset:         96
        .size:           2
        .value_kind:     hidden_group_size_z
      - .offset:         98
        .size:           2
        .value_kind:     hidden_remainder_x
      - .offset:         100
        .size:           2
        .value_kind:     hidden_remainder_y
      - .offset:         102
        .size:           2
        .value_kind:     hidden_remainder_z
      - .offset:         120
        .size:           8
        .value_kind:     hidden_global_offset_x
      - .offset:         128
        .size:           8
        .value_kind:     hidden_global_offset_y
      - .offset:         136
        .size:           8
        .value_kind:     hidden_global_offset_z
      - .offset:         144
        .size:           2
        .value_kind:     hidden_grid_dims
    .group_segment_fixed_size: 0
    .kernarg_segment_align: 8
    .kernarg_segment_size: 336
    .language:       OpenCL C
    .language_version:
      - 2
      - 0
    .max_flat_workgroup_size: 1024
    .name:           _ZL20generateSpanningTreeiPKiS0_iP8EdgeInfoPiS3_iS3_ii
    .private_segment_fixed_size: 0
    .sgpr_count:     47
    .sgpr_spill_count: 0
    .symbol:         _ZL20generateSpanningTreeiPKiS0_iP8EdgeInfoPiS3_iS3_ii.kd
    .uniform_work_group_size: 1
    .uses_dynamic_stack: false
    .vgpr_count:     17
    .vgpr_spill_count: 0
    .wavefront_size: 64
  - .agpr_count:     0
    .args:
      - .address_space:  global
        .offset:         0
        .size:           8
        .value_kind:     global_buffer
      - .address_space:  global
        .offset:         8
        .size:           8
        .value_kind:     global_buffer
      - .address_space:  global
        .offset:         16
        .size:           8
        .value_kind:     global_buffer
      - .offset:         24
        .size:           4
        .value_kind:     by_value
      - .offset:         28
        .size:           4
        .value_kind:     by_value
      - .offset:         32
        .size:           4
        .value_kind:     by_value
      - .offset:         40
        .size:           4
        .value_kind:     hidden_block_count_x
      - .offset:         44
        .size:           4
        .value_kind:     hidden_block_count_y
      - .offset:         48
        .size:           4
        .value_kind:     hidden_block_count_z
      - .offset:         52
        .size:           2
        .value_kind:     hidden_group_size_x
      - .offset:         54
        .size:           2
        .value_kind:     hidden_group_size_y
      - .offset:         56
        .size:           2
        .value_kind:     hidden_group_size_z
      - .offset:         58
        .size:           2
        .value_kind:     hidden_remainder_x
      - .offset:         60
        .size:           2
        .value_kind:     hidden_remainder_y
      - .offset:         62
        .size:           2
        .value_kind:     hidden_remainder_z
      - .offset:         80
        .size:           8
        .value_kind:     hidden_global_offset_x
      - .offset:         88
        .size:           8
        .value_kind:     hidden_global_offset_y
      - .offset:         96
        .size:           8
        .value_kind:     hidden_global_offset_z
      - .offset:         104
        .size:           2
        .value_kind:     hidden_grid_dims
    .group_segment_fixed_size: 0
    .kernarg_segment_align: 8
    .kernarg_segment_size: 296
    .language:       OpenCL C
    .language_version:
      - 2
      - 0
    .max_flat_workgroup_size: 1024
    .name:           _ZL9rootcountPKiS0_Piiii
    .private_segment_fixed_size: 0
    .sgpr_count:     18
    .sgpr_spill_count: 0
    .symbol:         _ZL9rootcountPKiS0_Piiii.kd
    .uniform_work_group_size: 1
    .uses_dynamic_stack: false
    .vgpr_count:     10
    .vgpr_spill_count: 0
    .wavefront_size: 64
  - .agpr_count:     0
    .args:
      - .offset:         0
        .size:           4
        .value_kind:     by_value
      - .actual_access:  read_only
        .address_space:  global
        .offset:         8
        .size:           8
        .value_kind:     global_buffer
      - .address_space:  global
        .offset:         16
        .size:           8
        .value_kind:     global_buffer
      - .address_space:  global
        .offset:         24
        .size:           8
        .value_kind:     global_buffer
      - .address_space:  global
        .offset:         32
        .size:           8
        .value_kind:     global_buffer
      - .address_space:  global
        .offset:         40
        .size:           8
        .value_kind:     global_buffer
      - .actual_access:  read_only
        .address_space:  global
        .offset:         48
        .size:           8
        .value_kind:     global_buffer
      - .actual_access:  read_only
        .address_space:  global
        .offset:         56
        .size:           8
        .value_kind:     global_buffer
      - .address_space:  global
        .offset:         64
        .size:           8
        .value_kind:     global_buffer
      - .offset:         72
        .size:           4
        .value_kind:     by_value
      - .offset:         76
        .size:           4
        .value_kind:     by_value
      - .offset:         80
        .size:           4
        .value_kind:     by_value
      - .offset:         88
        .size:           4
        .value_kind:     hidden_block_count_x
      - .offset:         92
        .size:           4
        .value_kind:     hidden_block_count_y
      - .offset:         96
        .size:           4
        .value_kind:     hidden_block_count_z
      - .offset:         100
        .size:           2
        .value_kind:     hidden_group_size_x
      - .offset:         102
        .size:           2
        .value_kind:     hidden_group_size_y
      - .offset:         104
        .size:           2
        .value_kind:     hidden_group_size_z
      - .offset:         106
        .size:           2
        .value_kind:     hidden_remainder_x
      - .offset:         108
        .size:           2
        .value_kind:     hidden_remainder_y
      - .offset:         110
        .size:           2
        .value_kind:     hidden_remainder_z
      - .offset:         128
        .size:           8
        .value_kind:     hidden_global_offset_x
      - .offset:         136
        .size:           8
        .value_kind:     hidden_global_offset_y
      - .offset:         144
        .size:           8
        .value_kind:     hidden_global_offset_z
      - .offset:         152
        .size:           2
        .value_kind:     hidden_grid_dims
    .group_segment_fixed_size: 0
    .kernarg_segment_align: 8
    .kernarg_segment_size: 344
    .language:       OpenCL C
    .language_version:
      - 2
      - 0
    .max_flat_workgroup_size: 1024
    .name:           _ZL9treelabeliPKiPViP8EdgeInfoS2_S2_S0_S0_Piiii
    .private_segment_fixed_size: 8
    .sgpr_count:     60
    .sgpr_spill_count: 0
    .symbol:         _ZL9treelabeliPKiPViP8EdgeInfoS2_S2_S0_S0_Piiii.kd
    .uniform_work_group_size: 1
    .uses_dynamic_stack: false
    .vgpr_count:     54
    .vgpr_spill_count: 0
    .wavefront_size: 64
  - .agpr_count:     0
    .args:
      - .offset:         0
        .size:           4
        .value_kind:     by_value
      - .actual_access:  read_only
        .address_space:  global
        .offset:         8
        .size:           8
        .value_kind:     global_buffer
      - .address_space:  global
        .offset:         16
        .size:           8
        .value_kind:     global_buffer
      - .offset:         24
        .size:           4
        .value_kind:     hidden_block_count_x
      - .offset:         28
        .size:           4
        .value_kind:     hidden_block_count_y
      - .offset:         32
        .size:           4
        .value_kind:     hidden_block_count_z
      - .offset:         36
        .size:           2
        .value_kind:     hidden_group_size_x
      - .offset:         38
        .size:           2
        .value_kind:     hidden_group_size_y
      - .offset:         40
        .size:           2
        .value_kind:     hidden_group_size_z
      - .offset:         42
        .size:           2
        .value_kind:     hidden_remainder_x
      - .offset:         44
        .size:           2
        .value_kind:     hidden_remainder_y
      - .offset:         46
        .size:           2
        .value_kind:     hidden_remainder_z
      - .offset:         64
        .size:           8
        .value_kind:     hidden_global_offset_x
      - .offset:         72
        .size:           8
        .value_kind:     hidden_global_offset_y
      - .offset:         80
        .size:           8
        .value_kind:     hidden_global_offset_z
      - .offset:         88
        .size:           2
        .value_kind:     hidden_grid_dims
    .group_segment_fixed_size: 0
    .kernarg_segment_align: 8
    .kernarg_segment_size: 280
    .language:       OpenCL C
    .language_version:
      - 2
      - 0
    .max_flat_workgroup_size: 1024
    .name:           _ZL12inTreeUpdateiPKiPVi
    .private_segment_fixed_size: 0
    .sgpr_count:     15
    .sgpr_spill_count: 0
    .symbol:         _ZL12inTreeUpdateiPKiPVi.kd
    .uniform_work_group_size: 1
    .uses_dynamic_stack: false
    .vgpr_count:     12
    .vgpr_spill_count: 0
    .wavefront_size: 64
  - .agpr_count:     0
    .args:
      - .offset:         0
        .size:           4
        .value_kind:     by_value
      - .actual_access:  read_only
        .address_space:  global
        .offset:         8
        .size:           8
        .value_kind:     global_buffer
      - .actual_access:  read_only
        .address_space:  global
        .offset:         16
        .size:           8
        .value_kind:     global_buffer
      - .actual_access:  read_only
        .address_space:  global
        .offset:         24
        .size:           8
        .value_kind:     global_buffer
      - .actual_access:  read_only
        .address_space:  global
        .offset:         32
        .size:           8
        .value_kind:     global_buffer
      - .actual_access:  write_only
        .address_space:  global
        .offset:         40
        .size:           8
        .value_kind:     global_buffer
      - .offset:         48
        .size:           4
        .value_kind:     hidden_block_count_x
      - .offset:         52
        .size:           4
        .value_kind:     hidden_block_count_y
      - .offset:         56
        .size:           4
        .value_kind:     hidden_block_count_z
      - .offset:         60
        .size:           2
        .value_kind:     hidden_group_size_x
      - .offset:         62
        .size:           2
        .value_kind:     hidden_group_size_y
      - .offset:         64
        .size:           2
        .value_kind:     hidden_group_size_z
      - .offset:         66
        .size:           2
        .value_kind:     hidden_remainder_x
      - .offset:         68
        .size:           2
        .value_kind:     hidden_remainder_y
      - .offset:         70
        .size:           2
        .value_kind:     hidden_remainder_z
      - .offset:         88
        .size:           8
        .value_kind:     hidden_global_offset_x
      - .offset:         96
        .size:           8
        .value_kind:     hidden_global_offset_y
      - .offset:         104
        .size:           8
        .value_kind:     hidden_global_offset_z
      - .offset:         112
        .size:           2
        .value_kind:     hidden_grid_dims
    .group_segment_fixed_size: 0
    .kernarg_segment_align: 8
    .kernarg_segment_size: 304
    .language:       OpenCL C
    .language_version:
      - 2
      - 0
    .max_flat_workgroup_size: 1024
    .name:           _ZL13processCyclesiPKiS0_S0_PK8EdgeInfoPb
    .private_segment_fixed_size: 0
    .sgpr_count:     42
    .sgpr_spill_count: 0
    .symbol:         _ZL13processCyclesiPKiS0_S0_PK8EdgeInfoPb.kd
    .uniform_work_group_size: 1
    .uses_dynamic_stack: false
    .vgpr_count:     18
    .vgpr_spill_count: 0
    .wavefront_size: 64
  - .agpr_count:     0
    .args:
      - .offset:         0
        .size:           4
        .value_kind:     by_value
      - .offset:         4
        .size:           4
        .value_kind:     by_value
      - .actual_access:  read_only
        .address_space:  global
        .offset:         8
        .size:           8
        .value_kind:     global_buffer
      - .actual_access:  read_only
        .address_space:  global
        .offset:         16
        .size:           8
        .value_kind:     global_buffer
      - .address_space:  global
        .offset:         24
        .size:           8
        .value_kind:     global_buffer
      - .address_space:  global
        .offset:         32
        .size:           8
        .value_kind:     global_buffer
      - .offset:         40
        .size:           4
        .value_kind:     hidden_block_count_x
      - .offset:         44
        .size:           4
        .value_kind:     hidden_block_count_y
      - .offset:         48
        .size:           4
        .value_kind:     hidden_block_count_z
      - .offset:         52
        .size:           2
        .value_kind:     hidden_group_size_x
      - .offset:         54
        .size:           2
        .value_kind:     hidden_group_size_y
      - .offset:         56
        .size:           2
        .value_kind:     hidden_group_size_z
      - .offset:         58
        .size:           2
        .value_kind:     hidden_remainder_x
      - .offset:         60
        .size:           2
        .value_kind:     hidden_remainder_y
      - .offset:         62
        .size:           2
        .value_kind:     hidden_remainder_z
      - .offset:         80
        .size:           8
        .value_kind:     hidden_global_offset_x
      - .offset:         88
        .size:           8
        .value_kind:     hidden_global_offset_y
      - .offset:         96
        .size:           8
        .value_kind:     hidden_global_offset_z
      - .offset:         104
        .size:           2
        .value_kind:     hidden_grid_dims
    .group_segment_fixed_size: 0
    .kernarg_segment_align: 8
    .kernarg_segment_size: 296
    .language:       OpenCL C
    .language_version:
      - 2
      - 0
    .max_flat_workgroup_size: 1024
    .name:           _ZL9initMinusiiPKiS0_PK8EdgeInfoPb
    .private_segment_fixed_size: 0
    .sgpr_count:     42
    .sgpr_spill_count: 0
    .symbol:         _ZL9initMinusiiPKiS0_PK8EdgeInfoPb.kd
    .uniform_work_group_size: 1
    .uses_dynamic_stack: false
    .vgpr_count:     32
    .vgpr_spill_count: 0
    .wavefront_size: 64
  - .agpr_count:     0
    .args:
      - .offset:         0
        .size:           4
        .value_kind:     by_value
      - .actual_access:  read_only
        .address_space:  global
        .offset:         8
        .size:           8
        .value_kind:     global_buffer
      - .actual_access:  read_only
        .address_space:  global
        .offset:         16
        .size:           8
        .value_kind:     global_buffer
      - .actual_access:  write_only
        .address_space:  global
        .offset:         24
        .size:           8
        .value_kind:     global_buffer
      - .actual_access:  write_only
        .address_space:  global
        .offset:         32
        .size:           8
        .value_kind:     global_buffer
      - .offset:         40
        .size:           4
        .value_kind:     hidden_block_count_x
      - .offset:         44
        .size:           4
        .value_kind:     hidden_block_count_y
      - .offset:         48
        .size:           4
        .value_kind:     hidden_block_count_z
      - .offset:         52
        .size:           2
        .value_kind:     hidden_group_size_x
      - .offset:         54
        .size:           2
        .value_kind:     hidden_group_size_y
      - .offset:         56
        .size:           2
        .value_kind:     hidden_group_size_z
      - .offset:         58
        .size:           2
        .value_kind:     hidden_remainder_x
      - .offset:         60
        .size:           2
        .value_kind:     hidden_remainder_y
      - .offset:         62
        .size:           2
        .value_kind:     hidden_remainder_z
      - .offset:         80
        .size:           8
        .value_kind:     hidden_global_offset_x
      - .offset:         88
        .size:           8
        .value_kind:     hidden_global_offset_y
      - .offset:         96
        .size:           8
        .value_kind:     hidden_global_offset_z
      - .offset:         104
        .size:           2
        .value_kind:     hidden_grid_dims
    .group_segment_fixed_size: 0
    .kernarg_segment_align: 8
    .kernarg_segment_size: 296
    .language:       OpenCL C
    .language_version:
      - 2
      - 0
    .max_flat_workgroup_size: 1024
    .name:           _ZL5init3iPKiS0_PiS1_
    .private_segment_fixed_size: 0
    .sgpr_count:     21
    .sgpr_spill_count: 0
    .symbol:         _ZL5init3iPKiS0_PiS1_.kd
    .uniform_work_group_size: 1
    .uses_dynamic_stack: false
    .vgpr_count:     15
    .vgpr_spill_count: 0
    .wavefront_size: 64
  - .agpr_count:     0
    .args:
      - .offset:         0
        .size:           4
        .value_kind:     by_value
      - .actual_access:  read_only
        .address_space:  global
        .offset:         8
        .size:           8
        .value_kind:     global_buffer
      - .actual_access:  read_only
        .address_space:  global
        .offset:         16
        .size:           8
        .value_kind:     global_buffer
      - .address_space:  global
        .offset:         24
        .size:           8
        .value_kind:     global_buffer
      - .actual_access:  read_only
        .address_space:  global
        .offset:         32
        .size:           8
        .value_kind:     global_buffer
      - .address_space:  global
        .offset:         40
        .size:           8
        .value_kind:     global_buffer
      - .offset:         48
        .size:           4
        .value_kind:     hidden_block_count_x
      - .offset:         52
        .size:           4
        .value_kind:     hidden_block_count_y
      - .offset:         56
        .size:           4
        .value_kind:     hidden_block_count_z
      - .offset:         60
        .size:           2
        .value_kind:     hidden_group_size_x
      - .offset:         62
        .size:           2
        .value_kind:     hidden_group_size_y
      - .offset:         64
        .size:           2
        .value_kind:     hidden_group_size_z
      - .offset:         66
        .size:           2
        .value_kind:     hidden_remainder_x
      - .offset:         68
        .size:           2
        .value_kind:     hidden_remainder_y
      - .offset:         70
        .size:           2
        .value_kind:     hidden_remainder_z
      - .offset:         88
        .size:           8
        .value_kind:     hidden_global_offset_x
      - .offset:         96
        .size:           8
        .value_kind:     hidden_global_offset_y
      - .offset:         104
        .size:           8
        .value_kind:     hidden_global_offset_z
      - .offset:         112
        .size:           2
        .value_kind:     hidden_grid_dims
    .group_segment_fixed_size: 0
    .kernarg_segment_align: 8
    .kernarg_segment_size: 304
    .language:       OpenCL C
    .language_version:
      - 2
      - 0
    .max_flat_workgroup_size: 1024
    .name:           _ZL8compute1iPKiS0_PiPKbS1_
    .private_segment_fixed_size: 0
    .sgpr_count:     36
    .sgpr_spill_count: 0
    .symbol:         _ZL8compute1iPKiS0_PiPKbS1_.kd
    .uniform_work_group_size: 1
    .uses_dynamic_stack: false
    .vgpr_count:     20
    .vgpr_spill_count: 0
    .wavefront_size: 64
  - .agpr_count:     0
    .args:
      - .offset:         0
        .size:           4
        .value_kind:     by_value
      - .address_space:  global
        .offset:         8
        .size:           8
        .value_kind:     global_buffer
      - .offset:         16
        .size:           4
        .value_kind:     hidden_block_count_x
      - .offset:         20
        .size:           4
        .value_kind:     hidden_block_count_y
      - .offset:         24
        .size:           4
        .value_kind:     hidden_block_count_z
      - .offset:         28
        .size:           2
        .value_kind:     hidden_group_size_x
      - .offset:         30
        .size:           2
        .value_kind:     hidden_group_size_y
      - .offset:         32
        .size:           2
        .value_kind:     hidden_group_size_z
      - .offset:         34
        .size:           2
        .value_kind:     hidden_remainder_x
      - .offset:         36
        .size:           2
        .value_kind:     hidden_remainder_y
      - .offset:         38
        .size:           2
        .value_kind:     hidden_remainder_z
      - .offset:         56
        .size:           8
        .value_kind:     hidden_global_offset_x
      - .offset:         64
        .size:           8
        .value_kind:     hidden_global_offset_y
      - .offset:         72
        .size:           8
        .value_kind:     hidden_global_offset_z
      - .offset:         80
        .size:           2
        .value_kind:     hidden_grid_dims
    .group_segment_fixed_size: 0
    .kernarg_segment_align: 8
    .kernarg_segment_size: 272
    .language:       OpenCL C
    .language_version:
      - 2
      - 0
    .max_flat_workgroup_size: 1024
    .name:           _ZL7flatteniPi
    .private_segment_fixed_size: 0
    .sgpr_count:     12
    .sgpr_spill_count: 0
    .symbol:         _ZL7flatteniPi.kd
    .uniform_work_group_size: 1
    .uses_dynamic_stack: false
    .vgpr_count:     10
    .vgpr_spill_count: 0
    .wavefront_size: 64
  - .agpr_count:     0
    .args:
      - .offset:         0
        .size:           4
        .value_kind:     by_value
      - .actual_access:  read_only
        .address_space:  global
        .offset:         8
        .size:           8
        .value_kind:     global_buffer
      - .address_space:  global
        .offset:         16
        .size:           8
        .value_kind:     global_buffer
      - .offset:         24
        .size:           4
        .value_kind:     hidden_block_count_x
      - .offset:         28
        .size:           4
        .value_kind:     hidden_block_count_y
      - .offset:         32
        .size:           4
        .value_kind:     hidden_block_count_z
      - .offset:         36
        .size:           2
        .value_kind:     hidden_group_size_x
      - .offset:         38
        .size:           2
        .value_kind:     hidden_group_size_y
      - .offset:         40
        .size:           2
        .value_kind:     hidden_group_size_z
      - .offset:         42
        .size:           2
        .value_kind:     hidden_remainder_x
      - .offset:         44
        .size:           2
        .value_kind:     hidden_remainder_y
      - .offset:         46
        .size:           2
        .value_kind:     hidden_remainder_z
      - .offset:         64
        .size:           8
        .value_kind:     hidden_global_offset_x
      - .offset:         72
        .size:           8
        .value_kind:     hidden_global_offset_y
      - .offset:         80
        .size:           8
        .value_kind:     hidden_global_offset_z
      - .offset:         88
        .size:           2
        .value_kind:     hidden_grid_dims
    .group_segment_fixed_size: 0
    .kernarg_segment_align: 8
    .kernarg_segment_size: 280
    .language:       OpenCL C
    .language_version:
      - 2
      - 0
    .max_flat_workgroup_size: 1024
    .name:           _ZL6ccSizeiPKiPi
    .private_segment_fixed_size: 0
    .sgpr_count:     15
    .sgpr_spill_count: 0
    .symbol:         _ZL6ccSizeiPKiPi.kd
    .uniform_work_group_size: 1
    .uses_dynamic_stack: false
    .vgpr_count:     8
    .vgpr_spill_count: 0
    .wavefront_size: 64
  - .agpr_count:     0
    .args:
      - .offset:         0
        .size:           4
        .value_kind:     by_value
      - .actual_access:  read_only
        .address_space:  global
        .offset:         8
        .size:           8
        .value_kind:     global_buffer
      - .offset:         16
        .size:           4
        .value_kind:     hidden_block_count_x
      - .offset:         20
        .size:           4
        .value_kind:     hidden_block_count_y
      - .offset:         24
        .size:           4
        .value_kind:     hidden_block_count_z
      - .offset:         28
        .size:           2
        .value_kind:     hidden_group_size_x
      - .offset:         30
        .size:           2
        .value_kind:     hidden_group_size_y
      - .offset:         32
        .size:           2
        .value_kind:     hidden_group_size_z
      - .offset:         34
        .size:           2
        .value_kind:     hidden_remainder_x
      - .offset:         36
        .size:           2
        .value_kind:     hidden_remainder_y
      - .offset:         38
        .size:           2
        .value_kind:     hidden_remainder_z
      - .offset:         56
        .size:           8
        .value_kind:     hidden_global_offset_x
      - .offset:         64
        .size:           8
        .value_kind:     hidden_global_offset_y
      - .offset:         72
        .size:           8
        .value_kind:     hidden_global_offset_z
      - .offset:         80
        .size:           2
        .value_kind:     hidden_grid_dims
    .group_segment_fixed_size: 0
    .kernarg_segment_align: 8
    .kernarg_segment_size: 272
    .language:       OpenCL C
    .language_version:
      - 2
      - 0
    .max_flat_workgroup_size: 1024
    .name:           _ZL9largestCCiPKi
    .private_segment_fixed_size: 0
    .sgpr_count:     20
    .sgpr_spill_count: 0
    .symbol:         _ZL9largestCCiPKi.kd
    .uniform_work_group_size: 1
    .uses_dynamic_stack: false
    .vgpr_count:     8
    .vgpr_spill_count: 0
    .wavefront_size: 64
  - .agpr_count:     0
    .args:
      - .offset:         0
        .size:           4
        .value_kind:     by_value
      - .actual_access:  read_only
        .address_space:  global
        .offset:         8
        .size:           8
        .value_kind:     global_buffer
      - .actual_access:  read_only
        .address_space:  global
        .offset:         16
        .size:           8
        .value_kind:     global_buffer
      - .actual_access:  read_only
        .address_space:  global
        .offset:         24
        .size:           8
        .value_kind:     global_buffer
      - .actual_access:  write_only
        .address_space:  global
        .offset:         32
        .size:           8
        .value_kind:     global_buffer
      - .actual_access:  write_only
        .address_space:  global
        .offset:         40
        .size:           8
        .value_kind:     global_buffer
      - .actual_access:  write_only
        .address_space:  global
        .offset:         48
        .size:           8
        .value_kind:     global_buffer
      - .offset:         56
        .size:           4
        .value_kind:     hidden_block_count_x
      - .offset:         60
        .size:           4
        .value_kind:     hidden_block_count_y
      - .offset:         64
        .size:           4
        .value_kind:     hidden_block_count_z
      - .offset:         68
        .size:           2
        .value_kind:     hidden_group_size_x
      - .offset:         70
        .size:           2
        .value_kind:     hidden_group_size_y
      - .offset:         72
        .size:           2
        .value_kind:     hidden_group_size_z
      - .offset:         74
        .size:           2
        .value_kind:     hidden_remainder_x
      - .offset:         76
        .size:           2
        .value_kind:     hidden_remainder_y
      - .offset:         78
        .size:           2
        .value_kind:     hidden_remainder_z
      - .offset:         96
        .size:           8
        .value_kind:     hidden_global_offset_x
      - .offset:         104
        .size:           8
        .value_kind:     hidden_global_offset_y
      - .offset:         112
        .size:           8
        .value_kind:     hidden_global_offset_z
      - .offset:         120
        .size:           2
        .value_kind:     hidden_grid_dims
    .group_segment_fixed_size: 0
    .kernarg_segment_align: 8
    .kernarg_segment_size: 312
    .language:       OpenCL C
    .language_version:
      - 2
      - 0
    .max_flat_workgroup_size: 1024
    .name:           _ZL10ccHopCountiPKiS0_S0_PiS1_S1_
    .private_segment_fixed_size: 0
    .sgpr_count:     31
    .sgpr_spill_count: 0
    .symbol:         _ZL10ccHopCountiPKiS0_S0_PiS1_S1_.kd
    .uniform_work_group_size: 1
    .uses_dynamic_stack: false
    .vgpr_count:     16
    .vgpr_spill_count: 0
    .wavefront_size: 64
  - .agpr_count:     0
    .args:
      - .address_space:  global
        .offset:         0
        .size:           8
        .value_kind:     global_buffer
      - .actual_access:  write_only
        .address_space:  global
        .offset:         8
        .size:           8
        .value_kind:     global_buffer
      - .actual_access:  read_only
        .address_space:  global
        .offset:         16
        .size:           8
        .value_kind:     global_buffer
      - .actual_access:  read_only
        .address_space:  global
        .offset:         24
        .size:           8
        .value_kind:     global_buffer
      - .offset:         32
        .size:           4
        .value_kind:     hidden_block_count_x
      - .offset:         36
        .size:           4
        .value_kind:     hidden_block_count_y
      - .offset:         40
        .size:           4
        .value_kind:     hidden_block_count_z
      - .offset:         44
        .size:           2
        .value_kind:     hidden_group_size_x
      - .offset:         46
        .size:           2
        .value_kind:     hidden_group_size_y
      - .offset:         48
        .size:           2
        .value_kind:     hidden_group_size_z
      - .offset:         50
        .size:           2
        .value_kind:     hidden_remainder_x
      - .offset:         52
        .size:           2
        .value_kind:     hidden_remainder_y
      - .offset:         54
        .size:           2
        .value_kind:     hidden_remainder_z
      - .offset:         72
        .size:           8
        .value_kind:     hidden_global_offset_x
      - .offset:         80
        .size:           8
        .value_kind:     hidden_global_offset_y
      - .offset:         88
        .size:           8
        .value_kind:     hidden_global_offset_z
      - .offset:         96
        .size:           2
        .value_kind:     hidden_grid_dims
    .group_segment_fixed_size: 0
    .kernarg_segment_align: 8
    .kernarg_segment_size: 288
    .language:       OpenCL C
    .language_version:
      - 2
      - 0
    .max_flat_workgroup_size: 1024
    .name:           _ZL11BellmanFordPiPbPKiS2_
    .private_segment_fixed_size: 0
    .sgpr_count:     25
    .sgpr_spill_count: 0
    .symbol:         _ZL11BellmanFordPiPbPKiS2_.kd
    .uniform_work_group_size: 1
    .uses_dynamic_stack: false
    .vgpr_count:     16
    .vgpr_spill_count: 0
    .wavefront_size: 64
  - .agpr_count:     0
    .args:
      - .offset:         0
        .size:           4
        .value_kind:     by_value
      - .actual_access:  read_only
        .address_space:  global
        .offset:         8
        .size:           8
        .value_kind:     global_buffer
      - .actual_access:  read_only
        .address_space:  global
        .offset:         16
        .size:           8
        .value_kind:     global_buffer
      - .address_space:  global
        .offset:         24
        .size:           8
        .value_kind:     global_buffer
      - .offset:         32
        .size:           4
        .value_kind:     hidden_block_count_x
      - .offset:         36
        .size:           4
        .value_kind:     hidden_block_count_y
      - .offset:         40
        .size:           4
        .value_kind:     hidden_block_count_z
      - .offset:         44
        .size:           2
        .value_kind:     hidden_group_size_x
      - .offset:         46
        .size:           2
        .value_kind:     hidden_group_size_y
      - .offset:         48
        .size:           2
        .value_kind:     hidden_group_size_z
      - .offset:         50
        .size:           2
        .value_kind:     hidden_remainder_x
      - .offset:         52
        .size:           2
        .value_kind:     hidden_remainder_y
      - .offset:         54
        .size:           2
        .value_kind:     hidden_remainder_z
      - .offset:         72
        .size:           8
        .value_kind:     hidden_global_offset_x
      - .offset:         80
        .size:           8
        .value_kind:     hidden_global_offset_y
      - .offset:         88
        .size:           8
        .value_kind:     hidden_global_offset_z
      - .offset:         96
        .size:           2
        .value_kind:     hidden_grid_dims
    .group_segment_fixed_size: 0
    .kernarg_segment_align: 8
    .kernarg_segment_size: 288
    .language:       OpenCL C
    .language_version:
      - 2
      - 0
    .max_flat_workgroup_size: 1024
    .name:           _ZL11incrementCCiPKiS0_Pi
    .private_segment_fixed_size: 0
    .sgpr_count:     17
    .sgpr_spill_count: 0
    .symbol:         _ZL11incrementCCiPKiS0_Pi.kd
    .uniform_work_group_size: 1
    .uses_dynamic_stack: false
    .vgpr_count:     12
    .vgpr_spill_count: 0
    .wavefront_size: 64
amdhsa.target:   amdgcn-amd-amdhsa--gfx90a
amdhsa.version:
  - 1
  - 2
...

	.end_amdgpu_metadata
